;; amdgpu-corpus repo=ROCm/rocFFT kind=compiled arch=gfx906 opt=O3
	.text
	.amdgcn_target "amdgcn-amd-amdhsa--gfx906"
	.amdhsa_code_object_version 6
	.protected	fft_rtc_back_len150_factors_10_5_3_wgs_60_tpt_5_halfLds_sp_ip_CI_unitstride_sbrr_dirReg ; -- Begin function fft_rtc_back_len150_factors_10_5_3_wgs_60_tpt_5_halfLds_sp_ip_CI_unitstride_sbrr_dirReg
	.globl	fft_rtc_back_len150_factors_10_5_3_wgs_60_tpt_5_halfLds_sp_ip_CI_unitstride_sbrr_dirReg
	.p2align	8
	.type	fft_rtc_back_len150_factors_10_5_3_wgs_60_tpt_5_halfLds_sp_ip_CI_unitstride_sbrr_dirReg,@function
fft_rtc_back_len150_factors_10_5_3_wgs_60_tpt_5_halfLds_sp_ip_CI_unitstride_sbrr_dirReg: ; @fft_rtc_back_len150_factors_10_5_3_wgs_60_tpt_5_halfLds_sp_ip_CI_unitstride_sbrr_dirReg
; %bb.0:
	v_mul_u32_u24_e32 v1, 0x3334, v0
	s_load_dwordx2 s[2:3], s[4:5], 0x50
	s_load_dwordx4 s[8:11], s[4:5], 0x0
	s_load_dwordx2 s[12:13], s[4:5], 0x18
	v_lshrrev_b32_e32 v1, 16, v1
	v_mad_u64_u32 v[16:17], s[0:1], s6, 12, v[1:2]
	v_mov_b32_e32 v3, 0
	s_waitcnt lgkmcnt(0)
	v_cmp_lt_u64_e64 s[0:1], s[10:11], 2
	v_mov_b32_e32 v17, v3
	v_mov_b32_e32 v1, 0
	;; [unrolled: 1-line block ×3, first 2 shown]
	s_and_b64 vcc, exec, s[0:1]
	v_mov_b32_e32 v2, 0
	v_mov_b32_e32 v8, v17
	s_cbranch_vccnz .LBB0_8
; %bb.1:
	s_load_dwordx2 s[0:1], s[4:5], 0x10
	s_add_u32 s6, s12, 8
	s_addc_u32 s7, s13, 0
	v_mov_b32_e32 v1, 0
	v_mov_b32_e32 v5, v16
	s_waitcnt lgkmcnt(0)
	s_add_u32 s16, s0, 8
	s_mov_b64 s[14:15], 1
	v_mov_b32_e32 v2, 0
	s_addc_u32 s17, s1, 0
	v_mov_b32_e32 v6, v17
.LBB0_2:                                ; =>This Inner Loop Header: Depth=1
	s_load_dwordx2 s[18:19], s[16:17], 0x0
                                        ; implicit-def: $vgpr7_vgpr8
	s_waitcnt lgkmcnt(0)
	v_or_b32_e32 v4, s19, v6
	v_cmp_ne_u64_e32 vcc, 0, v[3:4]
	s_and_saveexec_b64 s[0:1], vcc
	s_xor_b64 s[20:21], exec, s[0:1]
	s_cbranch_execz .LBB0_4
; %bb.3:                                ;   in Loop: Header=BB0_2 Depth=1
	v_cvt_f32_u32_e32 v4, s18
	v_cvt_f32_u32_e32 v7, s19
	s_sub_u32 s0, 0, s18
	s_subb_u32 s1, 0, s19
	v_mac_f32_e32 v4, 0x4f800000, v7
	v_rcp_f32_e32 v4, v4
	v_mul_f32_e32 v4, 0x5f7ffffc, v4
	v_mul_f32_e32 v7, 0x2f800000, v4
	v_trunc_f32_e32 v7, v7
	v_mac_f32_e32 v4, 0xcf800000, v7
	v_cvt_u32_f32_e32 v7, v7
	v_cvt_u32_f32_e32 v4, v4
	v_mul_lo_u32 v8, s0, v7
	v_mul_hi_u32 v9, s0, v4
	v_mul_lo_u32 v11, s1, v4
	v_mul_lo_u32 v10, s0, v4
	v_add_u32_e32 v8, v9, v8
	v_add_u32_e32 v8, v8, v11
	v_mul_hi_u32 v9, v4, v10
	v_mul_lo_u32 v11, v4, v8
	v_mul_hi_u32 v13, v4, v8
	v_mul_hi_u32 v12, v7, v10
	v_mul_lo_u32 v10, v7, v10
	v_mul_hi_u32 v14, v7, v8
	v_add_co_u32_e32 v9, vcc, v9, v11
	v_addc_co_u32_e32 v11, vcc, 0, v13, vcc
	v_mul_lo_u32 v8, v7, v8
	v_add_co_u32_e32 v9, vcc, v9, v10
	v_addc_co_u32_e32 v9, vcc, v11, v12, vcc
	v_addc_co_u32_e32 v10, vcc, 0, v14, vcc
	v_add_co_u32_e32 v8, vcc, v9, v8
	v_addc_co_u32_e32 v9, vcc, 0, v10, vcc
	v_add_co_u32_e32 v4, vcc, v4, v8
	v_addc_co_u32_e32 v7, vcc, v7, v9, vcc
	v_mul_lo_u32 v8, s0, v7
	v_mul_hi_u32 v9, s0, v4
	v_mul_lo_u32 v10, s1, v4
	v_mul_lo_u32 v11, s0, v4
	v_add_u32_e32 v8, v9, v8
	v_add_u32_e32 v8, v8, v10
	v_mul_lo_u32 v12, v4, v8
	v_mul_hi_u32 v13, v4, v11
	v_mul_hi_u32 v14, v4, v8
	;; [unrolled: 1-line block ×3, first 2 shown]
	v_mul_lo_u32 v11, v7, v11
	v_mul_hi_u32 v9, v7, v8
	v_add_co_u32_e32 v12, vcc, v13, v12
	v_addc_co_u32_e32 v13, vcc, 0, v14, vcc
	v_mul_lo_u32 v8, v7, v8
	v_add_co_u32_e32 v11, vcc, v12, v11
	v_addc_co_u32_e32 v10, vcc, v13, v10, vcc
	v_addc_co_u32_e32 v9, vcc, 0, v9, vcc
	v_add_co_u32_e32 v8, vcc, v10, v8
	v_addc_co_u32_e32 v9, vcc, 0, v9, vcc
	v_add_co_u32_e32 v4, vcc, v4, v8
	v_addc_co_u32_e32 v9, vcc, v7, v9, vcc
	v_mad_u64_u32 v[7:8], s[0:1], v5, v9, 0
	v_mul_hi_u32 v10, v5, v4
	v_add_co_u32_e32 v11, vcc, v10, v7
	v_addc_co_u32_e32 v12, vcc, 0, v8, vcc
	v_mad_u64_u32 v[7:8], s[0:1], v6, v4, 0
	v_mad_u64_u32 v[9:10], s[0:1], v6, v9, 0
	v_add_co_u32_e32 v4, vcc, v11, v7
	v_addc_co_u32_e32 v4, vcc, v12, v8, vcc
	v_addc_co_u32_e32 v7, vcc, 0, v10, vcc
	v_add_co_u32_e32 v4, vcc, v4, v9
	v_addc_co_u32_e32 v9, vcc, 0, v7, vcc
	v_mul_lo_u32 v10, s19, v4
	v_mul_lo_u32 v11, s18, v9
	v_mad_u64_u32 v[7:8], s[0:1], s18, v4, 0
	v_add3_u32 v8, v8, v11, v10
	v_sub_u32_e32 v10, v6, v8
	v_mov_b32_e32 v11, s19
	v_sub_co_u32_e32 v7, vcc, v5, v7
	v_subb_co_u32_e64 v10, s[0:1], v10, v11, vcc
	v_subrev_co_u32_e64 v11, s[0:1], s18, v7
	v_subbrev_co_u32_e64 v10, s[0:1], 0, v10, s[0:1]
	v_cmp_le_u32_e64 s[0:1], s19, v10
	v_cndmask_b32_e64 v12, 0, -1, s[0:1]
	v_cmp_le_u32_e64 s[0:1], s18, v11
	v_cndmask_b32_e64 v11, 0, -1, s[0:1]
	v_cmp_eq_u32_e64 s[0:1], s19, v10
	v_cndmask_b32_e64 v10, v12, v11, s[0:1]
	v_add_co_u32_e64 v11, s[0:1], 2, v4
	v_addc_co_u32_e64 v12, s[0:1], 0, v9, s[0:1]
	v_add_co_u32_e64 v13, s[0:1], 1, v4
	v_addc_co_u32_e64 v14, s[0:1], 0, v9, s[0:1]
	v_subb_co_u32_e32 v8, vcc, v6, v8, vcc
	v_cmp_ne_u32_e64 s[0:1], 0, v10
	v_cmp_le_u32_e32 vcc, s19, v8
	v_cndmask_b32_e64 v10, v14, v12, s[0:1]
	v_cndmask_b32_e64 v12, 0, -1, vcc
	v_cmp_le_u32_e32 vcc, s18, v7
	v_cndmask_b32_e64 v7, 0, -1, vcc
	v_cmp_eq_u32_e32 vcc, s19, v8
	v_cndmask_b32_e32 v7, v12, v7, vcc
	v_cmp_ne_u32_e32 vcc, 0, v7
	v_cndmask_b32_e64 v7, v13, v11, s[0:1]
	v_cndmask_b32_e32 v8, v9, v10, vcc
	v_cndmask_b32_e32 v7, v4, v7, vcc
.LBB0_4:                                ;   in Loop: Header=BB0_2 Depth=1
	s_andn2_saveexec_b64 s[0:1], s[20:21]
	s_cbranch_execz .LBB0_6
; %bb.5:                                ;   in Loop: Header=BB0_2 Depth=1
	v_cvt_f32_u32_e32 v4, s18
	s_sub_i32 s20, 0, s18
	v_rcp_iflag_f32_e32 v4, v4
	v_mul_f32_e32 v4, 0x4f7ffffe, v4
	v_cvt_u32_f32_e32 v4, v4
	v_mul_lo_u32 v7, s20, v4
	v_mul_hi_u32 v7, v4, v7
	v_add_u32_e32 v4, v4, v7
	v_mul_hi_u32 v4, v5, v4
	v_mul_lo_u32 v7, v4, s18
	v_add_u32_e32 v8, 1, v4
	v_sub_u32_e32 v7, v5, v7
	v_subrev_u32_e32 v9, s18, v7
	v_cmp_le_u32_e32 vcc, s18, v7
	v_cndmask_b32_e32 v7, v7, v9, vcc
	v_cndmask_b32_e32 v4, v4, v8, vcc
	v_add_u32_e32 v8, 1, v4
	v_cmp_le_u32_e32 vcc, s18, v7
	v_cndmask_b32_e32 v7, v4, v8, vcc
	v_mov_b32_e32 v8, v3
.LBB0_6:                                ;   in Loop: Header=BB0_2 Depth=1
	s_or_b64 exec, exec, s[0:1]
	v_mul_lo_u32 v4, v8, s18
	v_mul_lo_u32 v11, v7, s19
	v_mad_u64_u32 v[9:10], s[0:1], v7, s18, 0
	s_load_dwordx2 s[0:1], s[6:7], 0x0
	s_add_u32 s14, s14, 1
	v_add3_u32 v4, v10, v11, v4
	v_sub_co_u32_e32 v5, vcc, v5, v9
	v_subb_co_u32_e32 v4, vcc, v6, v4, vcc
	s_waitcnt lgkmcnt(0)
	v_mul_lo_u32 v4, s0, v4
	v_mul_lo_u32 v6, s1, v5
	v_mad_u64_u32 v[1:2], s[0:1], s0, v5, v[1:2]
	s_addc_u32 s15, s15, 0
	s_add_u32 s6, s6, 8
	v_add3_u32 v2, v6, v2, v4
	v_mov_b32_e32 v4, s10
	v_mov_b32_e32 v5, s11
	s_addc_u32 s7, s7, 0
	v_cmp_ge_u64_e32 vcc, s[14:15], v[4:5]
	s_add_u32 s16, s16, 8
	s_addc_u32 s17, s17, 0
	s_cbranch_vccnz .LBB0_8
; %bb.7:                                ;   in Loop: Header=BB0_2 Depth=1
	v_mov_b32_e32 v5, v7
	v_mov_b32_e32 v6, v8
	s_branch .LBB0_2
.LBB0_8:
	s_lshl_b64 s[0:1], s[10:11], 3
	s_add_u32 s0, s12, s0
	s_addc_u32 s1, s13, s1
	s_load_dwordx2 s[6:7], s[0:1], 0x0
	s_load_dwordx2 s[10:11], s[4:5], 0x20
                                        ; implicit-def: $vgpr66
	s_waitcnt lgkmcnt(0)
	v_mad_u64_u32 v[1:2], s[0:1], s6, v7, v[1:2]
	s_mov_b32 s0, 0x33333334
	v_mul_lo_u32 v3, s6, v8
	v_mul_lo_u32 v4, s7, v7
	v_mul_hi_u32 v5, v0, s0
	v_cmp_gt_u64_e32 vcc, s[10:11], v[7:8]
	v_cmp_le_u64_e64 s[0:1], s[10:11], v[7:8]
	v_add3_u32 v2, v4, v2, v3
	v_mul_u32_u24_e32 v3, 5, v5
	v_sub_u32_e32 v0, v0, v3
	v_or_b32_e32 v65, 40, v0
	s_and_saveexec_b64 s[4:5], s[0:1]
	s_xor_b64 s[0:1], exec, s[4:5]
; %bb.9:
	v_or_b32_e32 v65, 40, v0
	v_or_b32_e32 v66, 0x50, v0
; %bb.10:
	s_or_saveexec_b64 s[4:5], s[0:1]
	v_lshlrev_b64 v[2:3], 3, v[1:2]
                                        ; implicit-def: $vgpr15
                                        ; implicit-def: $vgpr24
                                        ; implicit-def: $vgpr13
                                        ; implicit-def: $vgpr22
                                        ; implicit-def: $vgpr11
                                        ; implicit-def: $vgpr20
                                        ; implicit-def: $vgpr9
                                        ; implicit-def: $vgpr18
                                        ; implicit-def: $vgpr7
                                        ; implicit-def: $vgpr5
                                        ; implicit-def: $vgpr36
                                        ; implicit-def: $vgpr46
                                        ; implicit-def: $vgpr34
                                        ; implicit-def: $vgpr50
                                        ; implicit-def: $vgpr30
                                        ; implicit-def: $vgpr44
                                        ; implicit-def: $vgpr32
                                        ; implicit-def: $vgpr48
                                        ; implicit-def: $vgpr28
                                        ; implicit-def: $vgpr26
                                        ; implicit-def: $vgpr56
                                        ; implicit-def: $vgpr60
                                        ; implicit-def: $vgpr54
                                        ; implicit-def: $vgpr64
                                        ; implicit-def: $vgpr42
                                        ; implicit-def: $vgpr58
                                        ; implicit-def: $vgpr38
                                        ; implicit-def: $vgpr62
                                        ; implicit-def: $vgpr52
                                        ; implicit-def: $vgpr40
	s_xor_b64 exec, exec, s[4:5]
	s_cbranch_execz .LBB0_12
; %bb.11:
	v_mov_b32_e32 v1, 0
	v_mov_b32_e32 v4, s3
	v_add_co_u32_e64 v6, s[0:1], s2, v2
	v_addc_co_u32_e64 v7, s[0:1], v4, v3, s[0:1]
	v_lshlrev_b64 v[4:5], 3, v[0:1]
	v_add_co_u32_e64 v66, s[0:1], v6, v4
	v_addc_co_u32_e64 v67, s[0:1], v7, v5, s[0:1]
	global_load_dwordx2 v[39:40], v[66:67], off
	global_load_dwordx2 v[25:26], v[66:67], off offset:40
	global_load_dwordx2 v[27:28], v[66:67], off offset:160
	;; [unrolled: 1-line block ×29, first 2 shown]
	v_or_b32_e32 v66, 0x50, v0
.LBB0_12:
	s_or_b64 exec, exec, s[4:5]
	s_mov_b32 s0, 0xaaaaaaab
	v_mul_hi_u32 v1, v16, s0
	s_waitcnt vmcnt(9)
	v_add_f32_e32 v68, v63, v57
	v_fma_f32 v68, -0.5, v68, v39
	v_mov_b32_e32 v69, v68
	v_lshrrev_b32_e32 v1, 3, v1
	v_mul_lo_u32 v1, v1, 12
	v_sub_f32_e32 v70, v58, v64
	v_sub_f32_e32 v71, v61, v57
	;; [unrolled: 1-line block ×3, first 2 shown]
	v_sub_u32_e32 v1, v16, v1
	v_sub_f32_e32 v16, v62, v60
	v_fmac_f32_e32 v69, 0xbf737871, v16
	v_fmac_f32_e32 v68, 0x3f737871, v16
	;; [unrolled: 1-line block ×3, first 2 shown]
	v_add_f32_e32 v71, v72, v71
	v_fmac_f32_e32 v68, 0x3f167918, v70
	v_fmac_f32_e32 v69, 0x3e9e377a, v71
	;; [unrolled: 1-line block ×3, first 2 shown]
	v_add_f32_e32 v71, v59, v61
	v_add_f32_e32 v67, v61, v39
	v_fmac_f32_e32 v39, -0.5, v71
	v_mov_b32_e32 v71, v39
	v_add_f32_e32 v67, v57, v67
	v_fmac_f32_e32 v71, 0x3f737871, v70
	v_sub_f32_e32 v72, v57, v61
	v_sub_f32_e32 v73, v63, v59
	v_fmac_f32_e32 v39, 0xbf737871, v70
	v_add_f32_e32 v70, v64, v58
	v_add_f32_e32 v67, v63, v67
	v_fmac_f32_e32 v71, 0xbf167918, v16
	v_add_f32_e32 v72, v73, v72
	v_fmac_f32_e32 v39, 0x3f167918, v16
	v_fma_f32 v70, -0.5, v70, v40
	v_add_f32_e32 v67, v59, v67
	v_fmac_f32_e32 v71, 0x3e9e377a, v72
	v_fmac_f32_e32 v39, 0x3e9e377a, v72
	v_sub_f32_e32 v59, v61, v59
	v_mov_b32_e32 v72, v70
	v_fmac_f32_e32 v72, 0x3f737871, v59
	v_sub_f32_e32 v57, v57, v63
	v_sub_f32_e32 v61, v62, v58
	;; [unrolled: 1-line block ×3, first 2 shown]
	v_fmac_f32_e32 v70, 0xbf737871, v59
	v_fmac_f32_e32 v72, 0x3f167918, v57
	v_add_f32_e32 v61, v63, v61
	v_fmac_f32_e32 v70, 0xbf167918, v57
	v_fmac_f32_e32 v72, 0x3e9e377a, v61
	;; [unrolled: 1-line block ×3, first 2 shown]
	v_add_f32_e32 v61, v60, v62
	v_add_f32_e32 v16, v62, v40
	v_fmac_f32_e32 v40, -0.5, v61
	v_add_f32_e32 v16, v58, v16
	v_mov_b32_e32 v73, v40
	v_add_f32_e32 v16, v64, v16
	v_fmac_f32_e32 v73, 0xbf737871, v57
	v_fmac_f32_e32 v40, 0x3f737871, v57
	v_add_f32_e32 v57, v37, v51
	v_add_f32_e32 v16, v60, v16
	v_sub_f32_e32 v58, v58, v62
	v_sub_f32_e32 v60, v64, v60
	v_add_f32_e32 v57, v41, v57
	v_fmac_f32_e32 v73, 0x3f167918, v59
	v_add_f32_e32 v58, v60, v58
	v_fmac_f32_e32 v40, 0xbf167918, v59
	s_waitcnt vmcnt(5)
	v_add_f32_e32 v57, v53, v57
	v_fmac_f32_e32 v73, 0x3e9e377a, v58
	v_fmac_f32_e32 v40, 0x3e9e377a, v58
	s_waitcnt vmcnt(3)
	v_add_f32_e32 v58, v55, v57
	v_add_f32_e32 v57, v53, v41
	v_fma_f32 v59, -0.5, v57, v51
	v_sub_f32_e32 v57, v38, v56
	v_mov_b32_e32 v60, v59
	v_fmac_f32_e32 v60, 0xbf737871, v57
	v_sub_f32_e32 v61, v42, v54
	v_sub_f32_e32 v62, v37, v41
	;; [unrolled: 1-line block ×3, first 2 shown]
	v_fmac_f32_e32 v59, 0x3f737871, v57
	v_fmac_f32_e32 v60, 0xbf167918, v61
	v_add_f32_e32 v62, v63, v62
	v_fmac_f32_e32 v59, 0x3f167918, v61
	v_fmac_f32_e32 v60, 0x3e9e377a, v62
	;; [unrolled: 1-line block ×3, first 2 shown]
	v_add_f32_e32 v62, v55, v37
	v_fmac_f32_e32 v51, -0.5, v62
	v_mov_b32_e32 v62, v51
	v_fmac_f32_e32 v62, 0x3f737871, v61
	v_fmac_f32_e32 v51, 0xbf737871, v61
	;; [unrolled: 1-line block ×4, first 2 shown]
	v_add_f32_e32 v57, v38, v52
	v_sub_f32_e32 v63, v41, v37
	v_sub_f32_e32 v64, v53, v55
	v_add_f32_e32 v57, v42, v57
	v_add_f32_e32 v63, v64, v63
	;; [unrolled: 1-line block ×3, first 2 shown]
	v_fmac_f32_e32 v62, 0x3e9e377a, v63
	v_fmac_f32_e32 v51, 0x3e9e377a, v63
	v_add_f32_e32 v63, v56, v57
	v_add_f32_e32 v57, v54, v42
	v_fma_f32 v61, -0.5, v57, v52
	v_sub_f32_e32 v37, v37, v55
	v_mov_b32_e32 v64, v61
	v_fmac_f32_e32 v64, 0x3f737871, v37
	v_sub_f32_e32 v41, v41, v53
	v_sub_f32_e32 v53, v38, v42
	;; [unrolled: 1-line block ×3, first 2 shown]
	v_fmac_f32_e32 v61, 0xbf737871, v37
	v_fmac_f32_e32 v64, 0x3f167918, v41
	v_add_f32_e32 v53, v55, v53
	v_fmac_f32_e32 v61, 0xbf167918, v41
	v_fmac_f32_e32 v64, 0x3e9e377a, v53
	;; [unrolled: 1-line block ×3, first 2 shown]
	v_add_f32_e32 v53, v56, v38
	v_fmac_f32_e32 v52, -0.5, v53
	v_mov_b32_e32 v74, v52
	v_fmac_f32_e32 v74, 0xbf737871, v41
	v_sub_f32_e32 v38, v42, v38
	v_sub_f32_e32 v42, v54, v56
	v_fmac_f32_e32 v52, 0x3f737871, v41
	v_fmac_f32_e32 v74, 0x3f167918, v37
	v_add_f32_e32 v38, v42, v38
	v_fmac_f32_e32 v52, 0xbf167918, v37
	v_mul_f32_e32 v79, 0x3f167918, v60
	v_fmac_f32_e32 v74, 0x3e9e377a, v38
	v_fmac_f32_e32 v52, 0x3e9e377a, v38
	v_add_f32_e32 v53, v58, v67
	v_mul_f32_e32 v75, 0xbf167918, v64
	v_mul_f32_e32 v78, 0xbf167918, v61
	v_fmac_f32_e32 v79, 0x3f4f1bbd, v64
	v_mul_f32_e32 v64, 0x3f737871, v62
	v_sub_f32_e32 v58, v67, v58
	v_add_f32_e32 v67, v49, v43
	v_fmac_f32_e32 v75, 0x3f4f1bbd, v60
	v_mul_f32_e32 v76, 0xbf737871, v74
	v_mul_f32_e32 v77, 0xbf737871, v52
	v_fmac_f32_e32 v78, 0xbf4f1bbd, v59
	v_fmac_f32_e32 v64, 0x3e9e377a, v74
	v_mul_f32_e32 v74, 0xbe9e377a, v52
	v_mul_f32_e32 v80, 0xbf4f1bbd, v61
	v_fma_f32 v67, -0.5, v67, v25
	v_add_f32_e32 v54, v69, v75
	v_fmac_f32_e32 v76, 0x3e9e377a, v62
	v_fmac_f32_e32 v77, 0xbe9e377a, v51
	v_add_f32_e32 v57, v68, v78
	v_fmac_f32_e32 v74, 0x3f737871, v51
	v_fmac_f32_e32 v80, 0x3f167918, v59
	v_sub_f32_e32 v59, v69, v75
	v_sub_f32_e32 v62, v68, v78
	;; [unrolled: 1-line block ×3, first 2 shown]
	v_mov_b32_e32 v69, v67
	v_add_f32_e32 v55, v71, v76
	v_add_f32_e32 v56, v39, v77
	;; [unrolled: 1-line block ×6, first 2 shown]
	v_sub_f32_e32 v60, v71, v76
	v_sub_f32_e32 v61, v39, v77
	;; [unrolled: 1-line block ×6, first 2 shown]
	v_fmac_f32_e32 v69, 0xbf737871, v68
	v_sub_f32_e32 v70, v44, v50
	v_sub_f32_e32 v71, v47, v43
	;; [unrolled: 1-line block ×3, first 2 shown]
	v_fmac_f32_e32 v67, 0x3f737871, v68
	v_fmac_f32_e32 v69, 0xbf167918, v70
	v_add_f32_e32 v71, v72, v71
	v_fmac_f32_e32 v67, 0x3f167918, v70
	v_fmac_f32_e32 v69, 0x3e9e377a, v71
	;; [unrolled: 1-line block ×3, first 2 shown]
	v_add_f32_e32 v71, v45, v47
	v_add_f32_e32 v16, v47, v25
	v_fmac_f32_e32 v25, -0.5, v71
	v_mov_b32_e32 v71, v25
	v_add_f32_e32 v41, v73, v64
	v_sub_f32_e32 v64, v73, v64
	v_add_f32_e32 v16, v43, v16
	v_fmac_f32_e32 v71, 0x3f737871, v70
	v_sub_f32_e32 v72, v43, v47
	v_sub_f32_e32 v73, v49, v45
	v_fmac_f32_e32 v25, 0xbf737871, v70
	v_add_f32_e32 v70, v50, v44
	v_add_f32_e32 v16, v49, v16
	v_fmac_f32_e32 v71, 0xbf167918, v68
	v_add_f32_e32 v72, v73, v72
	v_fmac_f32_e32 v25, 0x3f167918, v68
	v_fma_f32 v70, -0.5, v70, v26
	v_add_f32_e32 v16, v45, v16
	v_fmac_f32_e32 v71, 0x3e9e377a, v72
	v_fmac_f32_e32 v25, 0x3e9e377a, v72
	v_sub_f32_e32 v45, v47, v45
	v_mov_b32_e32 v72, v70
	v_fmac_f32_e32 v72, 0x3f737871, v45
	v_sub_f32_e32 v43, v43, v49
	v_sub_f32_e32 v47, v48, v44
	;; [unrolled: 1-line block ×3, first 2 shown]
	v_fmac_f32_e32 v70, 0xbf737871, v45
	v_fmac_f32_e32 v72, 0x3f167918, v43
	v_add_f32_e32 v47, v49, v47
	v_fmac_f32_e32 v70, 0xbf167918, v43
	v_add_f32_e32 v68, v48, v26
	v_fmac_f32_e32 v72, 0x3e9e377a, v47
	v_fmac_f32_e32 v70, 0x3e9e377a, v47
	v_add_f32_e32 v47, v46, v48
	v_add_f32_e32 v68, v44, v68
	v_fmac_f32_e32 v26, -0.5, v47
	v_add_f32_e32 v68, v50, v68
	v_mov_b32_e32 v73, v26
	v_add_f32_e32 v68, v46, v68
	v_fmac_f32_e32 v73, 0xbf737871, v43
	v_sub_f32_e32 v44, v44, v48
	v_sub_f32_e32 v46, v50, v46
	v_fmac_f32_e32 v26, 0x3f737871, v43
	v_fmac_f32_e32 v73, 0x3f167918, v45
	v_add_f32_e32 v44, v46, v44
	v_fmac_f32_e32 v26, 0xbf167918, v45
	v_fmac_f32_e32 v73, 0x3e9e377a, v44
	;; [unrolled: 1-line block ×3, first 2 shown]
	v_add_f32_e32 v44, v33, v29
	v_fma_f32 v44, -0.5, v44, v27
	s_waitcnt vmcnt(1)
	v_sub_f32_e32 v45, v32, v36
	v_mov_b32_e32 v46, v44
	v_fmac_f32_e32 v46, 0xbf737871, v45
	v_sub_f32_e32 v47, v30, v34
	v_sub_f32_e32 v48, v31, v29
	;; [unrolled: 1-line block ×3, first 2 shown]
	v_fmac_f32_e32 v44, 0x3f737871, v45
	v_fmac_f32_e32 v46, 0xbf167918, v47
	v_add_f32_e32 v48, v49, v48
	v_fmac_f32_e32 v44, 0x3f167918, v47
	v_fmac_f32_e32 v46, 0x3e9e377a, v48
	v_fmac_f32_e32 v44, 0x3e9e377a, v48
	v_add_f32_e32 v48, v35, v31
	v_add_f32_e32 v43, v31, v27
	v_fmac_f32_e32 v27, -0.5, v48
	v_mov_b32_e32 v48, v27
	v_fmac_f32_e32 v48, 0x3f737871, v47
	v_fmac_f32_e32 v27, 0xbf737871, v47
	;; [unrolled: 1-line block ×4, first 2 shown]
	v_add_f32_e32 v45, v32, v28
	v_sub_f32_e32 v49, v29, v31
	v_sub_f32_e32 v50, v33, v35
	v_add_f32_e32 v45, v30, v45
	v_add_f32_e32 v49, v50, v49
	;; [unrolled: 1-line block ×3, first 2 shown]
	v_fmac_f32_e32 v48, 0x3e9e377a, v49
	v_fmac_f32_e32 v27, 0x3e9e377a, v49
	v_add_f32_e32 v49, v36, v45
	v_add_f32_e32 v45, v34, v30
	;; [unrolled: 1-line block ×3, first 2 shown]
	v_fma_f32 v47, -0.5, v45, v28
	v_add_f32_e32 v43, v33, v43
	v_sub_f32_e32 v31, v31, v35
	v_mov_b32_e32 v45, v47
	v_add_f32_e32 v43, v35, v43
	v_fmac_f32_e32 v45, 0x3f737871, v31
	v_sub_f32_e32 v29, v29, v33
	v_sub_f32_e32 v33, v32, v30
	;; [unrolled: 1-line block ×3, first 2 shown]
	v_fmac_f32_e32 v47, 0xbf737871, v31
	v_fmac_f32_e32 v45, 0x3f167918, v29
	v_add_f32_e32 v33, v35, v33
	v_fmac_f32_e32 v47, 0xbf167918, v29
	v_fmac_f32_e32 v45, 0x3e9e377a, v33
	;; [unrolled: 1-line block ×3, first 2 shown]
	v_add_f32_e32 v33, v36, v32
	v_fmac_f32_e32 v28, -0.5, v33
	v_mov_b32_e32 v50, v28
	v_fmac_f32_e32 v50, 0xbf737871, v29
	v_sub_f32_e32 v30, v30, v32
	v_sub_f32_e32 v32, v34, v36
	v_fmac_f32_e32 v50, 0x3f167918, v31
	v_add_f32_e32 v30, v32, v30
	v_fmac_f32_e32 v50, 0x3e9e377a, v30
	v_fmac_f32_e32 v28, 0x3f737871, v29
	v_mul_f32_e32 v77, 0xbf167918, v47
	v_fmac_f32_e32 v28, 0xbf167918, v31
	v_mul_f32_e32 v75, 0xbf737871, v50
	v_fmac_f32_e32 v77, 0xbf4f1bbd, v44
	v_fmac_f32_e32 v28, 0x3e9e377a, v30
	v_mul_f32_e32 v74, 0xbf167918, v45
	v_fmac_f32_e32 v75, 0x3e9e377a, v48
	v_add_f32_e32 v33, v67, v77
	v_mul_f32_e32 v79, 0x3f737871, v48
	v_sub_f32_e32 v48, v67, v77
	v_add_f32_e32 v67, v21, v19
	v_fmac_f32_e32 v74, 0x3f4f1bbd, v46
	v_mul_f32_e32 v76, 0xbf737871, v28
	v_mul_f32_e32 v78, 0x3f167918, v46
	;; [unrolled: 1-line block ×4, first 2 shown]
	v_fma_f32 v67, -0.5, v67, v4
	v_add_f32_e32 v29, v43, v16
	v_add_f32_e32 v30, v69, v74
	v_fmac_f32_e32 v76, 0xbe9e377a, v27
	v_add_f32_e32 v35, v49, v68
	v_fmac_f32_e32 v78, 0x3f4f1bbd, v45
	v_fmac_f32_e32 v80, 0x3f737871, v27
	;; [unrolled: 1-line block ×3, first 2 shown]
	v_sub_f32_e32 v34, v16, v43
	v_sub_f32_e32 v43, v69, v74
	;; [unrolled: 1-line block ×4, first 2 shown]
	v_mov_b32_e32 v69, v67
	v_add_f32_e32 v31, v71, v75
	v_add_f32_e32 v32, v25, v76
	;; [unrolled: 1-line block ×5, first 2 shown]
	v_sub_f32_e32 v44, v71, v75
	v_sub_f32_e32 v47, v25, v76
	;; [unrolled: 1-line block ×5, first 2 shown]
	v_fmac_f32_e32 v69, 0xbf737871, v68
	v_sub_f32_e32 v70, v20, v22
	v_sub_f32_e32 v71, v17, v19
	v_sub_f32_e32 v72, v23, v21
	v_fmac_f32_e32 v67, 0x3f737871, v68
	v_fmac_f32_e32 v69, 0xbf167918, v70
	v_add_f32_e32 v71, v72, v71
	v_fmac_f32_e32 v67, 0x3f167918, v70
	v_fmac_f32_e32 v69, 0x3e9e377a, v71
	;; [unrolled: 1-line block ×3, first 2 shown]
	v_add_f32_e32 v71, v23, v17
	v_add_f32_e32 v16, v17, v4
	v_fmac_f32_e32 v4, -0.5, v71
	v_fmac_f32_e32 v79, 0x3e9e377a, v50
	v_mov_b32_e32 v71, v4
	v_add_f32_e32 v45, v73, v79
	v_sub_f32_e32 v50, v73, v79
	v_fmac_f32_e32 v71, 0x3f737871, v70
	v_sub_f32_e32 v72, v19, v17
	v_sub_f32_e32 v73, v21, v23
	v_fmac_f32_e32 v4, 0xbf737871, v70
	v_add_f32_e32 v70, v22, v20
	v_add_f32_e32 v16, v19, v16
	v_fmac_f32_e32 v71, 0xbf167918, v68
	v_add_f32_e32 v72, v73, v72
	v_fmac_f32_e32 v4, 0x3f167918, v68
	v_fma_f32 v70, -0.5, v70, v5
	v_add_f32_e32 v16, v21, v16
	v_fmac_f32_e32 v71, 0x3e9e377a, v72
	v_fmac_f32_e32 v4, 0x3e9e377a, v72
	v_sub_f32_e32 v17, v17, v23
	v_mov_b32_e32 v72, v70
	v_add_f32_e32 v16, v23, v16
	v_fmac_f32_e32 v72, 0x3f737871, v17
	v_sub_f32_e32 v19, v19, v21
	v_sub_f32_e32 v21, v18, v20
	;; [unrolled: 1-line block ×3, first 2 shown]
	v_fmac_f32_e32 v70, 0xbf737871, v17
	v_fmac_f32_e32 v72, 0x3f167918, v19
	v_add_f32_e32 v21, v23, v21
	v_fmac_f32_e32 v70, 0xbf167918, v19
	v_fmac_f32_e32 v72, 0x3e9e377a, v21
	v_fmac_f32_e32 v70, 0x3e9e377a, v21
	v_add_f32_e32 v21, v24, v18
	v_add_f32_e32 v68, v18, v5
	v_fmac_f32_e32 v5, -0.5, v21
	v_mov_b32_e32 v73, v5
	v_fmac_f32_e32 v73, 0xbf737871, v19
	v_fmac_f32_e32 v5, 0x3f737871, v19
	;; [unrolled: 1-line block ×4, first 2 shown]
	v_add_f32_e32 v17, v8, v6
	v_add_f32_e32 v17, v10, v17
	v_add_f32_e32 v68, v20, v68
	v_add_f32_e32 v17, v12, v17
	v_add_f32_e32 v68, v22, v68
	v_sub_f32_e32 v18, v20, v18
	v_sub_f32_e32 v20, v22, v24
	s_waitcnt vmcnt(0)
	v_add_f32_e32 v22, v14, v17
	v_add_f32_e32 v17, v12, v10
	;; [unrolled: 1-line block ×3, first 2 shown]
	v_fma_f32 v21, -0.5, v17, v6
	v_fmac_f32_e32 v73, 0x3e9e377a, v18
	v_fmac_f32_e32 v5, 0x3e9e377a, v18
	v_sub_f32_e32 v17, v9, v15
	v_mov_b32_e32 v18, v21
	v_fmac_f32_e32 v18, 0xbf737871, v17
	v_sub_f32_e32 v19, v11, v13
	v_sub_f32_e32 v20, v8, v10
	;; [unrolled: 1-line block ×3, first 2 shown]
	v_fmac_f32_e32 v21, 0x3f737871, v17
	v_fmac_f32_e32 v18, 0xbf167918, v19
	v_add_f32_e32 v20, v23, v20
	v_fmac_f32_e32 v21, 0x3f167918, v19
	v_fmac_f32_e32 v18, 0x3e9e377a, v20
	v_fmac_f32_e32 v21, 0x3e9e377a, v20
	v_add_f32_e32 v20, v14, v8
	v_fmac_f32_e32 v6, -0.5, v20
	v_mov_b32_e32 v20, v6
	v_fmac_f32_e32 v20, 0x3f737871, v19
	v_fmac_f32_e32 v6, 0xbf737871, v19
	;; [unrolled: 1-line block ×4, first 2 shown]
	v_add_f32_e32 v17, v9, v7
	v_add_f32_e32 v17, v11, v17
	;; [unrolled: 1-line block ×3, first 2 shown]
	v_sub_f32_e32 v23, v10, v8
	v_sub_f32_e32 v24, v12, v14
	v_add_f32_e32 v17, v13, v17
	v_add_f32_e32 v23, v24, v23
	v_add_f32_e32 v74, v15, v17
	v_add_f32_e32 v17, v13, v11
	v_fmac_f32_e32 v20, 0x3e9e377a, v23
	v_fmac_f32_e32 v6, 0x3e9e377a, v23
	v_fma_f32 v23, -0.5, v17, v7
	v_sub_f32_e32 v8, v8, v14
	v_mov_b32_e32 v14, v23
	v_fmac_f32_e32 v14, 0x3f737871, v8
	v_sub_f32_e32 v10, v10, v12
	v_sub_f32_e32 v12, v9, v11
	;; [unrolled: 1-line block ×3, first 2 shown]
	v_fmac_f32_e32 v23, 0xbf737871, v8
	v_fmac_f32_e32 v14, 0x3f167918, v10
	v_add_f32_e32 v12, v17, v12
	v_fmac_f32_e32 v23, 0xbf167918, v10
	v_fmac_f32_e32 v14, 0x3e9e377a, v12
	v_fmac_f32_e32 v23, 0x3e9e377a, v12
	v_add_f32_e32 v12, v15, v9
	v_fmac_f32_e32 v7, -0.5, v12
	v_mov_b32_e32 v19, v7
	v_sub_f32_e32 v9, v11, v9
	v_sub_f32_e32 v11, v13, v15
	v_fmac_f32_e32 v7, 0x3f737871, v10
	v_add_f32_e32 v9, v11, v9
	v_fmac_f32_e32 v7, 0xbf167918, v8
	v_fmac_f32_e32 v19, 0xbf737871, v10
	;; [unrolled: 1-line block ×3, first 2 shown]
	v_mul_u32_u24_e32 v1, 0x96, v1
	v_fmac_f32_e32 v19, 0x3f167918, v8
	v_mul_f32_e32 v15, 0xbf167918, v14
	v_mul_f32_e32 v75, 0xbf737871, v7
	v_fmac_f32_e32 v19, 0x3e9e377a, v9
	v_fmac_f32_e32 v15, 0x3f4f1bbd, v18
	;; [unrolled: 1-line block ×3, first 2 shown]
	v_mul_f32_e32 v78, 0xbe9e377a, v7
	v_lshlrev_b32_e32 v1, 2, v1
	v_add_f32_e32 v9, v69, v15
	v_mul_f32_e32 v24, 0xbf737871, v19
	v_add_f32_e32 v11, v4, v75
	v_mul_f32_e32 v76, 0xbf167918, v23
	v_mul_f32_e32 v77, 0x3f167918, v18
	v_fmac_f32_e32 v78, 0x3f737871, v6
	v_mul_f32_e32 v79, 0xbf4f1bbd, v23
	v_sub_f32_e32 v6, v69, v15
	v_sub_f32_e32 v23, v4, v75
	v_mul_u32_u24_e32 v4, 10, v0
	v_add_u32_e32 v15, 0, v1
	v_fmac_f32_e32 v24, 0x3e9e377a, v20
	v_fmac_f32_e32 v76, 0xbf4f1bbd, v21
	;; [unrolled: 1-line block ×3, first 2 shown]
	v_mul_f32_e32 v14, 0x3f737871, v20
	v_add_f32_e32 v20, v5, v78
	v_sub_f32_e32 v69, v5, v78
	v_lshl_add_u32 v5, v4, 2, v15
	v_lshlrev_b32_e32 v4, 2, v0
	v_add_f32_e32 v8, v22, v16
	v_add_f32_e32 v10, v71, v24
	;; [unrolled: 1-line block ×3, first 2 shown]
	v_fmac_f32_e32 v14, 0x3e9e377a, v19
	v_fmac_f32_e32 v79, 0x3f167918, v21
	v_sub_f32_e32 v13, v16, v22
	v_sub_f32_e32 v7, v71, v24
	;; [unrolled: 1-line block ×3, first 2 shown]
	ds_write2_b64 v5, v[53:54], v[55:56] offset1:1
	ds_write2_b64 v5, v[57:58], v[59:60] offset0:2 offset1:3
	ds_write2_b64 v5, v[29:30], v[31:32] offset0:25 offset1:26
	;; [unrolled: 1-line block ×6, first 2 shown]
	ds_write_b64 v5, v[23:24] offset:432
	v_add_u32_e32 v43, v15, v4
	v_add3_u32 v1, 0, v4, v1
	v_add_f32_e32 v17, v74, v68
	v_add_f32_e32 v18, v72, v77
	;; [unrolled: 1-line block ×4, first 2 shown]
	v_sub_f32_e32 v22, v68, v74
	v_sub_f32_e32 v67, v72, v77
	;; [unrolled: 1-line block ×4, first 2 shown]
	s_waitcnt lgkmcnt(0)
	; wave barrier
	s_waitcnt lgkmcnt(0)
	ds_read2_b32 v[6:7], v1 offset0:25 offset1:30
	ds_read2_b32 v[12:13], v1 offset0:60 offset1:65
	;; [unrolled: 1-line block ×5, first 2 shown]
	v_lshl_add_u32 v44, v65, 2, v15
	ds_read_b32 v16, v43
	ds_read_b32 v14, v44
	ds_read2_b32 v[73:74], v1 offset0:70 offset1:75
	ds_read2_b32 v[57:58], v1 offset0:100 offset1:105
	;; [unrolled: 1-line block ×9, first 2 shown]
	s_waitcnt lgkmcnt(0)
	; wave barrier
	s_waitcnt lgkmcnt(0)
	ds_write2_b64 v5, v[37:38], v[41:42] offset1:1
	ds_write2_b64 v5, v[51:52], v[63:64] offset0:2 offset1:3
	ds_write2_b64 v5, v[35:36], v[45:46] offset0:25 offset1:26
	;; [unrolled: 1-line block ×6, first 2 shown]
	ds_write_b64 v5, v[69:70] offset:432
	v_mov_b32_e32 v5, 0
	v_lshlrev_b64 v[17:18], 3, v[4:5]
	v_add_u32_e32 v38, 5, v0
	v_lshlrev_b32_e32 v4, 2, v38
	v_mov_b32_e32 v23, s9
	v_add_co_u32_e64 v25, s[0:1], s8, v17
	v_lshlrev_b64 v[21:22], 3, v[4:5]
	v_addc_co_u32_e64 v26, s[0:1], v23, v18, s[0:1]
	v_add_co_u32_e64 v27, s[0:1], s8, v21
	v_addc_co_u32_e64 v28, s[0:1], v23, v22, s[0:1]
	s_waitcnt lgkmcnt(0)
	; wave barrier
	s_waitcnt lgkmcnt(0)
	global_load_dwordx4 v[17:20], v[25:26], off offset:16
	v_add_u32_e32 v39, 20, v0
	s_movk_i32 s0, 0xcd
	v_mul_lo_u16_sdwa v4, v39, s0 dst_sel:DWORD dst_unused:UNUSED_PAD src0_sel:BYTE_0 src1_sel:DWORD
	global_load_dwordx4 v[21:24], v[27:28], off offset:16
	v_lshrrev_b16_e32 v4, 11, v4
	v_mul_lo_u16_e32 v4, 10, v4
	v_sub_u16_e32 v4, v39, v4
	v_and_b32_e32 v4, 0xff, v4
	v_lshlrev_b32_e32 v36, 5, v4
	global_load_dwordx4 v[30:33], v36, s[8:9]
	ds_read2_b32 v[34:35], v1 offset0:90 offset1:95
	ds_read2_b32 v[40:41], v1 offset0:120 offset1:125
	;; [unrolled: 1-line block ×4, first 2 shown]
	global_load_dwordx4 v[45:48], v[25:26], off
	global_load_dwordx4 v[49:52], v[27:28], off
	v_add_u32_e32 v37, 25, v0
	v_lshl_add_u32 v4, v4, 2, v15
	s_waitcnt vmcnt(4) lgkmcnt(3)
	v_mul_f32_e32 v67, v34, v18
	v_mul_f32_e32 v25, v53, v18
	v_fmac_f32_e32 v67, v53, v17
	v_fma_f32 v53, v34, v17, -v25
	v_mul_f32_e32 v25, v55, v20
	s_waitcnt lgkmcnt(1)
	v_mul_f32_e32 v86, v61, v18
	v_mul_f32_e32 v18, v57, v18
	;; [unrolled: 1-line block ×3, first 2 shown]
	v_fma_f32 v69, v40, v19, -v25
	s_waitcnt vmcnt(3)
	v_mul_f32_e32 v25, v54, v22
	v_fmac_f32_e32 v86, v57, v17
	v_fma_f32 v87, v61, v17, -v18
	s_waitcnt lgkmcnt(0)
	v_mul_f32_e32 v88, v63, v20
	v_mul_f32_e32 v17, v59, v20
	v_fmac_f32_e32 v68, v55, v19
	v_mul_f32_e32 v70, v35, v22
	v_fma_f32 v83, v35, v21, -v25
	v_fmac_f32_e32 v88, v59, v19
	v_fma_f32 v89, v63, v19, -v17
	v_mul_lo_u16_sdwa v17, v37, s0 dst_sel:DWORD dst_unused:UNUSED_PAD src0_sel:BYTE_0 src1_sel:DWORD
	ds_read2_b32 v[19:20], v1 offset0:50 offset1:55
	ds_read2_b32 v[34:35], v1 offset0:80 offset1:85
	v_lshrrev_b16_e32 v17, 11, v17
	v_mul_lo_u16_e32 v17, 10, v17
	v_mul_f32_e32 v18, v58, v22
	v_sub_u16_e32 v17, v37, v17
	v_fma_f32 v26, v62, v21, -v18
	v_mul_f32_e32 v18, v60, v24
	v_mul_f32_e32 v84, v41, v24
	;; [unrolled: 1-line block ×3, first 2 shown]
	v_and_b32_e32 v17, 0xff, v17
	v_mul_f32_e32 v29, v64, v24
	v_fma_f32 v27, v64, v23, -v18
	s_waitcnt vmcnt(2)
	v_mul_f32_e32 v18, v75, v31
	v_fmac_f32_e32 v84, v56, v23
	v_fma_f32 v85, v41, v23, -v25
	v_lshlrev_b32_e32 v25, 5, v17
	v_mul_f32_e32 v28, v62, v22
	v_fmac_f32_e32 v29, v60, v23
	s_waitcnt lgkmcnt(1)
	v_mul_f32_e32 v22, v19, v31
	v_fma_f32 v18, v19, v30, -v18
	s_waitcnt lgkmcnt(0)
	v_mul_f32_e32 v23, v34, v33
	v_mul_f32_e32 v19, v77, v33
	v_fmac_f32_e32 v28, v58, v21
	global_load_dwordx4 v[56:59], v36, s[8:9] offset:16
	v_fmac_f32_e32 v22, v75, v30
	v_fmac_f32_e32 v23, v77, v32
	v_fma_f32 v19, v34, v32, -v19
	global_load_dwordx4 v[30:33], v25, s[8:9]
	global_load_dwordx4 v[60:63], v25, s[8:9] offset:16
	v_fmac_f32_e32 v70, v54, v21
	s_waitcnt vmcnt(3)
	v_mul_f32_e32 v34, v71, v50
	v_sub_f32_e32 v41, v68, v67
	s_waitcnt vmcnt(1)
	v_mul_f32_e32 v21, v76, v31
	v_mul_f32_e32 v24, v20, v31
	v_fma_f32 v20, v20, v30, -v21
	v_mul_f32_e32 v25, v35, v33
	v_mul_f32_e32 v21, v78, v33
	v_fmac_f32_e32 v24, v76, v30
	v_fmac_f32_e32 v25, v78, v32
	v_fma_f32 v21, v35, v32, -v21
	ds_read2_b32 v[30:31], v1 offset0:35 offset1:45
	ds_read2_b32 v[32:33], v1 offset0:60 offset1:65
	ds_read_b32 v40, v43
	s_waitcnt lgkmcnt(2)
	v_mul_f32_e32 v64, v30, v50
	v_fmac_f32_e32 v64, v71, v49
	v_fma_f32 v71, v30, v49, -v34
	v_mul_f32_e32 v30, v72, v50
	v_mul_f32_e32 v54, v31, v50
	v_fma_f32 v50, v31, v49, -v30
	ds_read2_b32 v[30:31], v1 offset0:70 offset1:75
	v_fmac_f32_e32 v54, v72, v49
	s_waitcnt lgkmcnt(2)
	v_mul_f32_e32 v72, v33, v52
	v_fmac_f32_e32 v72, v13, v51
	v_mul_f32_e32 v13, v13, v52
	v_fma_f32 v75, v33, v51, -v13
	s_waitcnt lgkmcnt(0)
	v_mul_f32_e32 v55, v31, v52
	v_mul_f32_e32 v13, v74, v52
	v_fmac_f32_e32 v55, v74, v51
	v_fma_f32 v52, v31, v51, -v13
	v_mul_f32_e32 v51, v32, v48
	v_fmac_f32_e32 v51, v12, v47
	v_mul_f32_e32 v12, v12, v48
	v_fma_f32 v74, v32, v47, -v12
	ds_read_b32 v31, v44
	ds_read2_b32 v[12:13], v1 offset0:25 offset1:30
	v_mul_f32_e32 v76, v30, v48
	v_mul_f32_e32 v32, v73, v48
	v_fmac_f32_e32 v76, v73, v47
	s_waitcnt lgkmcnt(1)
	v_mul_f32_e32 v77, v31, v46
	s_waitcnt lgkmcnt(0)
	v_mul_f32_e32 v90, v13, v46
	v_fmac_f32_e32 v77, v14, v45
	v_mul_f32_e32 v14, v14, v46
	v_fmac_f32_e32 v90, v7, v45
	v_mul_f32_e32 v7, v7, v46
	v_fma_f32 v78, v31, v45, -v14
	v_fma_f32 v91, v13, v45, -v7
	ds_read2_b32 v[13:14], v1 offset0:110 offset1:115
	v_fma_f32 v73, v30, v47, -v32
	ds_read2_b32 v[30:31], v1 offset0:140 offset1:145
	v_mul_f32_e32 v7, v79, v57
	v_sub_f32_e32 v35, v90, v51
	s_waitcnt lgkmcnt(1)
	v_fma_f32 v36, v13, v56, -v7
	v_mul_f32_e32 v7, v81, v59
	s_waitcnt lgkmcnt(0)
	v_fma_f32 v47, v30, v58, -v7
	s_waitcnt vmcnt(0)
	v_mul_f32_e32 v7, v80, v61
	v_mul_f32_e32 v49, v30, v59
	v_fma_f32 v30, v14, v60, -v7
	v_mul_f32_e32 v7, v82, v63
	v_fma_f32 v32, v31, v62, -v7
	v_add_f32_e32 v7, v16, v90
	v_add_f32_e32 v7, v7, v51
	;; [unrolled: 1-line block ×3, first 2 shown]
	v_mul_f32_e32 v34, v31, v63
	v_add_f32_e32 v63, v7, v68
	v_add_f32_e32 v7, v51, v67
	v_fma_f32 v7, -0.5, v7, v16
	v_mul_f32_e32 v48, v13, v57
	v_sub_f32_e32 v13, v91, v69
	v_mov_b32_e32 v31, v7
	v_mul_f32_e32 v33, v14, v61
	v_fmac_f32_e32 v31, 0xbf737871, v13
	v_sub_f32_e32 v14, v74, v53
	v_fmac_f32_e32 v7, 0x3f737871, v13
	v_fmac_f32_e32 v31, 0xbf167918, v14
	v_add_f32_e32 v35, v35, v41
	v_fmac_f32_e32 v7, 0x3f167918, v14
	v_fmac_f32_e32 v31, 0x3e9e377a, v35
	v_fmac_f32_e32 v7, 0x3e9e377a, v35
	v_add_f32_e32 v35, v90, v68
	v_fmac_f32_e32 v16, -0.5, v35
	v_sub_f32_e32 v35, v51, v90
	v_sub_f32_e32 v41, v67, v68
	v_add_f32_e32 v41, v35, v41
	v_mov_b32_e32 v35, v16
	v_fmac_f32_e32 v35, 0x3f737871, v14
	v_fmac_f32_e32 v16, 0xbf737871, v14
	;; [unrolled: 1-line block ×4, first 2 shown]
	v_add_f32_e32 v13, v40, v91
	v_add_f32_e32 v13, v13, v74
	;; [unrolled: 1-line block ×5, first 2 shown]
	v_fmac_f32_e32 v35, 0x3e9e377a, v41
	v_fmac_f32_e32 v16, 0x3e9e377a, v41
	v_fma_f32 v41, -0.5, v13, v40
	v_sub_f32_e32 v13, v90, v68
	v_mov_b32_e32 v45, v41
	v_fmac_f32_e32 v45, 0x3f737871, v13
	v_sub_f32_e32 v14, v51, v67
	v_sub_f32_e32 v46, v91, v74
	;; [unrolled: 1-line block ×3, first 2 shown]
	v_fmac_f32_e32 v41, 0xbf737871, v13
	v_fmac_f32_e32 v45, 0x3f167918, v14
	v_add_f32_e32 v46, v46, v51
	v_fmac_f32_e32 v41, 0xbf167918, v14
	v_fmac_f32_e32 v45, 0x3e9e377a, v46
	;; [unrolled: 1-line block ×3, first 2 shown]
	v_add_f32_e32 v46, v91, v69
	v_fmac_f32_e32 v40, -0.5, v46
	v_mov_b32_e32 v46, v40
	v_fmac_f32_e32 v46, 0xbf737871, v14
	v_sub_f32_e32 v51, v74, v91
	v_sub_f32_e32 v53, v53, v69
	v_fmac_f32_e32 v40, 0x3f737871, v14
	v_fmac_f32_e32 v46, 0x3f167918, v13
	v_add_f32_e32 v51, v51, v53
	v_fmac_f32_e32 v40, 0xbf167918, v13
	v_add_f32_e32 v13, v72, v70
	v_fmac_f32_e32 v46, 0x3e9e377a, v51
	v_fmac_f32_e32 v40, 0x3e9e377a, v51
	v_fma_f32 v51, -0.5, v13, v10
	v_sub_f32_e32 v13, v71, v85
	v_mov_b32_e32 v53, v51
	v_fmac_f32_e32 v48, v79, v56
	v_fmac_f32_e32 v53, 0xbf737871, v13
	v_sub_f32_e32 v14, v75, v83
	v_sub_f32_e32 v56, v64, v72
	;; [unrolled: 1-line block ×3, first 2 shown]
	v_fmac_f32_e32 v51, 0x3f737871, v13
	v_fmac_f32_e32 v53, 0xbf167918, v14
	v_add_f32_e32 v56, v56, v57
	v_fmac_f32_e32 v51, 0x3f167918, v14
	v_fmac_f32_e32 v53, 0x3e9e377a, v56
	;; [unrolled: 1-line block ×3, first 2 shown]
	v_add_f32_e32 v56, v64, v84
	v_fmac_f32_e32 v49, v81, v58
	v_fma_f32 v58, -0.5, v56, v10
	v_mov_b32_e32 v59, v58
	v_fmac_f32_e32 v59, 0x3f737871, v14
	v_fmac_f32_e32 v58, 0xbf737871, v14
	;; [unrolled: 1-line block ×4, first 2 shown]
	ds_read2_b32 v[13:14], v1 offset0:5 offset1:10
	v_sub_f32_e32 v56, v72, v64
	v_sub_f32_e32 v57, v70, v84
	v_add_f32_e32 v56, v56, v57
	v_fmac_f32_e32 v59, 0x3e9e377a, v56
	v_fmac_f32_e32 v58, 0x3e9e377a, v56
	v_add_f32_e32 v10, v10, v64
	v_sub_f32_e32 v56, v71, v75
	v_sub_f32_e32 v57, v85, v83
	v_fmac_f32_e32 v33, v80, v60
	v_add_f32_e32 v10, v10, v72
	v_add_f32_e32 v60, v56, v57
	;; [unrolled: 1-line block ×4, first 2 shown]
	s_waitcnt lgkmcnt(0)
	v_fma_f32 v56, -0.5, v56, v13
	v_add_f32_e32 v74, v10, v84
	v_sub_f32_e32 v10, v64, v84
	v_mov_b32_e32 v57, v56
	v_sub_f32_e32 v64, v72, v70
	v_fmac_f32_e32 v57, 0x3f737871, v10
	v_fmac_f32_e32 v56, 0xbf737871, v10
	v_add_f32_e32 v61, v71, v85
	v_fmac_f32_e32 v34, v82, v62
	v_fmac_f32_e32 v57, 0x3f167918, v64
	;; [unrolled: 1-line block ×3, first 2 shown]
	v_sub_f32_e32 v62, v75, v71
	v_sub_f32_e32 v67, v83, v85
	v_fma_f32 v61, -0.5, v61, v13
	v_fmac_f32_e32 v57, 0x3e9e377a, v60
	v_fmac_f32_e32 v56, 0x3e9e377a, v60
	v_add_f32_e32 v60, v13, v71
	v_add_f32_e32 v13, v62, v67
	v_mov_b32_e32 v62, v61
	v_fmac_f32_e32 v62, 0xbf737871, v64
	v_fmac_f32_e32 v61, 0x3f737871, v64
	;; [unrolled: 1-line block ×4, first 2 shown]
	v_add_f32_e32 v10, v76, v86
	v_fmac_f32_e32 v62, 0x3e9e377a, v13
	v_fmac_f32_e32 v61, 0x3e9e377a, v13
	v_fma_f32 v10, -0.5, v10, v11
	v_sub_f32_e32 v13, v77, v76
	v_sub_f32_e32 v64, v88, v86
	v_add_f32_e32 v64, v13, v64
	v_sub_f32_e32 v67, v78, v89
	v_mov_b32_e32 v13, v10
	v_fmac_f32_e32 v13, 0xbf737871, v67
	v_sub_f32_e32 v68, v73, v87
	v_fmac_f32_e32 v10, 0x3f737871, v67
	v_fmac_f32_e32 v13, 0xbf167918, v68
	;; [unrolled: 1-line block ×3, first 2 shown]
	v_add_f32_e32 v69, v77, v88
	v_fmac_f32_e32 v13, 0x3e9e377a, v64
	v_fmac_f32_e32 v10, 0x3e9e377a, v64
	v_add_f32_e32 v64, v11, v77
	v_fmac_f32_e32 v11, -0.5, v69
	v_sub_f32_e32 v69, v76, v77
	v_sub_f32_e32 v70, v86, v88
	v_add_f32_e32 v69, v69, v70
	v_mov_b32_e32 v70, v11
	v_add_f32_e32 v64, v64, v76
	v_fmac_f32_e32 v70, 0x3f737871, v68
	v_fmac_f32_e32 v11, 0xbf737871, v68
	v_add_f32_e32 v64, v64, v86
	v_fmac_f32_e32 v70, 0xbf167918, v67
	v_fmac_f32_e32 v11, 0x3f167918, v67
	v_add_f32_e32 v71, v64, v88
	v_sub_f32_e32 v64, v78, v73
	v_sub_f32_e32 v67, v89, v87
	v_add_f32_e32 v72, v64, v67
	v_add_f32_e32 v64, v73, v87
	v_fma_f32 v64, -0.5, v64, v14
	v_sub_f32_e32 v68, v77, v88
	v_mov_b32_e32 v67, v64
	v_fmac_f32_e32 v70, 0x3e9e377a, v69
	v_fmac_f32_e32 v11, 0x3e9e377a, v69
	v_sub_f32_e32 v69, v76, v86
	v_fmac_f32_e32 v67, 0x3f737871, v68
	v_fmac_f32_e32 v64, 0xbf737871, v68
	;; [unrolled: 1-line block ×4, first 2 shown]
	v_add_f32_e32 v60, v60, v75
	v_fmac_f32_e32 v67, 0x3e9e377a, v72
	v_fmac_f32_e32 v64, 0x3e9e377a, v72
	v_add_f32_e32 v72, v14, v78
	v_add_f32_e32 v75, v78, v89
	v_fmac_f32_e32 v14, -0.5, v75
	v_add_f32_e32 v72, v72, v73
	v_sub_f32_e32 v73, v73, v78
	v_sub_f32_e32 v75, v87, v89
	v_add_f32_e32 v73, v73, v75
	v_mov_b32_e32 v75, v14
	v_fmac_f32_e32 v75, 0xbf737871, v69
	v_fmac_f32_e32 v14, 0x3f737871, v69
	;; [unrolled: 1-line block ×6, first 2 shown]
	v_add_f32_e32 v73, v55, v28
	ds_read2_b32 v[68:69], v1 offset0:15 offset1:20
	v_fma_f32 v73, -0.5, v73, v8
	s_waitcnt lgkmcnt(0)
	; wave barrier
	s_waitcnt lgkmcnt(0)
	ds_write2_b32 v1, v63, v74 offset1:5
	v_sub_f32_e32 v63, v54, v55
	v_sub_f32_e32 v74, v29, v28
	v_add_f32_e32 v63, v63, v74
	v_sub_f32_e32 v74, v50, v27
	v_mov_b32_e32 v76, v73
	v_fmac_f32_e32 v76, 0xbf737871, v74
	v_sub_f32_e32 v77, v52, v26
	v_fmac_f32_e32 v73, 0x3f737871, v74
	v_fmac_f32_e32 v76, 0xbf167918, v77
	;; [unrolled: 1-line block ×5, first 2 shown]
	v_sub_f32_e32 v63, v55, v54
	v_sub_f32_e32 v78, v28, v29
	v_add_f32_e32 v63, v63, v78
	v_add_f32_e32 v78, v54, v29
	v_fma_f32 v78, -0.5, v78, v8
	v_add_f32_e32 v8, v8, v54
	v_add_f32_e32 v8, v8, v55
	;; [unrolled: 1-line block ×3, first 2 shown]
	v_mov_b32_e32 v79, v78
	v_add_f32_e32 v8, v8, v29
	v_sub_f32_e32 v29, v54, v29
	v_sub_f32_e32 v28, v55, v28
	;; [unrolled: 1-line block ×4, first 2 shown]
	v_fmac_f32_e32 v79, 0x3f737871, v77
	v_fmac_f32_e32 v78, 0xbf737871, v77
	v_add_f32_e32 v54, v54, v55
	v_add_f32_e32 v55, v52, v26
	v_fmac_f32_e32 v79, 0xbf167918, v74
	v_fmac_f32_e32 v78, 0x3f167918, v74
	v_fma_f32 v55, -0.5, v55, v68
	v_fmac_f32_e32 v79, 0x3e9e377a, v63
	v_fmac_f32_e32 v78, 0x3e9e377a, v63
	v_mov_b32_e32 v63, v55
	v_fmac_f32_e32 v63, 0x3f737871, v29
	v_fmac_f32_e32 v55, 0xbf737871, v29
	;; [unrolled: 1-line block ×6, first 2 shown]
	v_add_f32_e32 v54, v68, v50
	v_add_f32_e32 v54, v54, v52
	v_sub_f32_e32 v52, v52, v50
	v_add_f32_e32 v50, v50, v27
	v_add_f32_e32 v54, v54, v26
	v_sub_f32_e32 v26, v26, v27
	v_fma_f32 v50, -0.5, v50, v68
	v_add_f32_e32 v26, v52, v26
	v_mov_b32_e32 v52, v50
	v_fmac_f32_e32 v52, 0xbf737871, v28
	v_fmac_f32_e32 v50, 0x3f737871, v28
	;; [unrolled: 1-line block ×4, first 2 shown]
	v_add_f32_e32 v54, v54, v27
	v_fmac_f32_e32 v52, 0x3e9e377a, v26
	v_fmac_f32_e32 v50, 0x3e9e377a, v26
	v_sub_f32_e32 v26, v22, v23
	v_sub_f32_e32 v27, v49, v48
	v_add_f32_e32 v26, v26, v27
	v_add_f32_e32 v27, v23, v48
	v_fma_f32 v27, -0.5, v27, v9
	v_sub_f32_e32 v28, v18, v47
	v_mov_b32_e32 v29, v27
	v_fmac_f32_e32 v29, 0xbf737871, v28
	v_sub_f32_e32 v68, v19, v36
	v_fmac_f32_e32 v27, 0x3f737871, v28
	v_fmac_f32_e32 v29, 0xbf167918, v68
	;; [unrolled: 1-line block ×3, first 2 shown]
	v_add_f32_e32 v74, v22, v49
	v_fmac_f32_e32 v29, 0x3e9e377a, v26
	v_fmac_f32_e32 v27, 0x3e9e377a, v26
	v_add_f32_e32 v26, v9, v22
	v_fmac_f32_e32 v9, -0.5, v74
	v_sub_f32_e32 v74, v23, v22
	v_sub_f32_e32 v77, v48, v49
	v_add_f32_e32 v74, v74, v77
	v_mov_b32_e32 v77, v9
	v_fmac_f32_e32 v77, 0x3f737871, v68
	v_fmac_f32_e32 v9, 0xbf737871, v68
	v_add_f32_e32 v26, v26, v23
	v_fmac_f32_e32 v77, 0xbf167918, v28
	v_fmac_f32_e32 v9, 0x3f167918, v28
	v_add_f32_e32 v26, v26, v48
	v_sub_f32_e32 v23, v23, v48
	v_sub_f32_e32 v28, v18, v19
	;; [unrolled: 1-line block ×3, first 2 shown]
	v_add_f32_e32 v28, v28, v48
	v_add_f32_e32 v48, v19, v36
	v_fma_f32 v48, -0.5, v48, v69
	v_add_f32_e32 v26, v26, v49
	v_sub_f32_e32 v22, v22, v49
	v_mov_b32_e32 v49, v48
	v_fmac_f32_e32 v49, 0x3f737871, v22
	v_fmac_f32_e32 v48, 0xbf737871, v22
	;; [unrolled: 1-line block ×6, first 2 shown]
	v_add_f32_e32 v28, v69, v18
	v_add_f32_e32 v68, v18, v47
	v_fmac_f32_e32 v69, -0.5, v68
	v_add_f32_e32 v28, v28, v19
	v_fmac_f32_e32 v77, 0x3e9e377a, v74
	v_fmac_f32_e32 v9, 0x3e9e377a, v74
	v_sub_f32_e32 v18, v19, v18
	v_add_f32_e32 v19, v28, v36
	v_mov_b32_e32 v74, v69
	v_add_f32_e32 v68, v19, v47
	v_sub_f32_e32 v19, v36, v47
	v_fmac_f32_e32 v74, 0xbf737871, v23
	v_fmac_f32_e32 v69, 0x3f737871, v23
	v_add_f32_e32 v18, v18, v19
	v_fmac_f32_e32 v74, 0x3f167918, v22
	v_fmac_f32_e32 v69, 0xbf167918, v22
	;; [unrolled: 1-line block ×4, first 2 shown]
	v_sub_f32_e32 v18, v24, v25
	v_sub_f32_e32 v19, v34, v33
	v_add_f32_e32 v18, v18, v19
	v_add_f32_e32 v19, v25, v33
	v_fma_f32 v19, -0.5, v19, v6
	v_sub_f32_e32 v22, v20, v32
	v_mov_b32_e32 v23, v19
	v_fmac_f32_e32 v23, 0xbf737871, v22
	v_sub_f32_e32 v28, v21, v30
	v_fmac_f32_e32 v19, 0x3f737871, v22
	v_fmac_f32_e32 v23, 0xbf167918, v28
	;; [unrolled: 1-line block ×3, first 2 shown]
	v_add_f32_e32 v36, v24, v34
	v_fmac_f32_e32 v23, 0x3e9e377a, v18
	v_fmac_f32_e32 v19, 0x3e9e377a, v18
	v_add_f32_e32 v18, v6, v24
	v_fmac_f32_e32 v6, -0.5, v36
	v_sub_f32_e32 v36, v25, v24
	v_sub_f32_e32 v47, v33, v34
	v_add_f32_e32 v36, v36, v47
	v_mov_b32_e32 v47, v6
	v_fmac_f32_e32 v47, 0x3f737871, v28
	v_fmac_f32_e32 v6, 0xbf737871, v28
	;; [unrolled: 1-line block ×4, first 2 shown]
	v_add_f32_e32 v18, v18, v25
	v_sub_f32_e32 v22, v24, v34
	v_sub_f32_e32 v24, v25, v33
	;; [unrolled: 1-line block ×4, first 2 shown]
	v_add_f32_e32 v25, v25, v28
	v_add_f32_e32 v28, v21, v30
	v_fma_f32 v80, -0.5, v28, v12
	v_mov_b32_e32 v81, v80
	v_fmac_f32_e32 v81, 0x3f737871, v22
	v_fmac_f32_e32 v80, 0xbf737871, v22
	;; [unrolled: 1-line block ×6, first 2 shown]
	v_add_f32_e32 v25, v12, v20
	v_add_f32_e32 v28, v20, v32
	v_fmac_f32_e32 v12, -0.5, v28
	v_add_f32_e32 v25, v25, v21
	v_add_f32_e32 v60, v60, v83
	v_sub_f32_e32 v20, v21, v20
	v_add_f32_e32 v21, v25, v30
	v_mov_b32_e32 v83, v12
	v_add_f32_e32 v18, v18, v33
	v_add_f32_e32 v82, v21, v32
	v_sub_f32_e32 v21, v30, v32
	v_fmac_f32_e32 v83, 0xbf737871, v24
	v_fmac_f32_e32 v12, 0x3f737871, v24
	;; [unrolled: 1-line block ×4, first 2 shown]
	v_add_f32_e32 v18, v18, v34
	v_add_f32_e32 v20, v20, v21
	v_fmac_f32_e32 v83, 0x3f167918, v22
	v_fmac_f32_e32 v12, 0xbf167918, v22
	ds_write2_b32 v1, v31, v53 offset0:10 offset1:15
	ds_write2_b32 v1, v35, v59 offset0:20 offset1:25
	;; [unrolled: 1-line block ×4, first 2 shown]
	ds_write_b32 v1, v71 offset:200
	ds_write_b32 v1, v13 offset:240
	;; [unrolled: 1-line block ×3, first 2 shown]
	v_lshl_add_u32 v51, v66, 2, v15
	v_lshl_add_u32 v53, v17, 2, v15
	v_fmac_f32_e32 v83, 0x3e9e377a, v20
	v_fmac_f32_e32 v12, 0x3e9e377a, v20
	ds_write_b32 v51, v11
	ds_write_b32 v1, v8 offset:220
	ds_write_b32 v1, v76 offset:260
	ds_write2_b32 v1, v79, v78 offset0:75 offset1:85
	ds_write2_b32 v1, v10, v73 offset0:90 offset1:95
	;; [unrolled: 1-line block ×4, first 2 shown]
	ds_write_b32 v4, v27 offset:560
	ds_write2_b32 v53, v18, v23 offset0:100 offset1:110
	ds_write2_b32 v53, v47, v6 offset0:120 offset1:130
	ds_write_b32 v53, v19 offset:560
	s_waitcnt lgkmcnt(0)
	; wave barrier
	s_waitcnt lgkmcnt(0)
	ds_read2_b32 v[8:9], v1 offset0:50 offset1:55
	ds_read2_b32 v[6:7], v1 offset0:100 offset1:105
	;; [unrolled: 1-line block ×12, first 2 shown]
	ds_read_b32 v13, v43
	ds_read_b32 v47, v44
	ds_read2_b32 v[33:34], v1 offset0:90 offset1:95
	ds_read2_b32 v[35:36], v1 offset0:140 offset1:145
	v_add_f32_e32 v60, v60, v85
	v_add_f32_e32 v72, v72, v87
	;; [unrolled: 1-line block ×3, first 2 shown]
	s_waitcnt lgkmcnt(0)
	; wave barrier
	s_waitcnt lgkmcnt(0)
	ds_write2_b32 v1, v42, v60 offset1:5
	ds_write2_b32 v1, v45, v57 offset0:10 offset1:15
	ds_write2_b32 v1, v46, v62 offset0:20 offset1:25
	;; [unrolled: 1-line block ×4, first 2 shown]
	ds_write_b32 v1, v72 offset:200
	ds_write_b32 v1, v67 offset:240
	;; [unrolled: 1-line block ×3, first 2 shown]
	ds_write_b32 v51, v14
	ds_write_b32 v1, v54 offset:220
	ds_write_b32 v1, v63 offset:260
	ds_write2_b32 v1, v52, v50 offset0:75 offset1:85
	ds_write2_b32 v1, v64, v55 offset0:90 offset1:95
	;; [unrolled: 1-line block ×4, first 2 shown]
	ds_write_b32 v4, v48 offset:560
	ds_write2_b32 v53, v82, v81 offset0:100 offset1:110
	ds_write2_b32 v53, v83, v12 offset0:120 offset1:130
	ds_write_b32 v53, v80 offset:560
	s_waitcnt lgkmcnt(0)
	; wave barrier
	s_waitcnt lgkmcnt(0)
	s_and_saveexec_b64 s[0:1], vcc
	s_cbranch_execz .LBB0_14
; %bb.13:
	v_add_u32_e32 v12, 45, v0
	v_lshlrev_b32_e32 v4, 1, v12
	v_lshlrev_b64 v[41:42], 3, v[4:5]
	v_mov_b32_e32 v40, s9
	v_add_co_u32_e32 v41, vcc, s8, v41
	v_addc_co_u32_e32 v42, vcc, v40, v42, vcc
	v_lshlrev_b32_e32 v4, 1, v65
	global_load_dwordx4 v[48:51], v[41:42], off offset:320
	v_lshlrev_b64 v[41:42], 3, v[4:5]
	v_lshlrev_b32_e32 v60, 1, v0
	v_add_co_u32_e32 v41, vcc, s8, v41
	v_addc_co_u32_e32 v42, vcc, v40, v42, vcc
	v_add_u32_e32 v4, 0x46, v60
	global_load_dwordx4 v[52:55], v[41:42], off offset:320
	v_lshlrev_b64 v[41:42], 3, v[4:5]
	v_add_u32_e32 v14, 30, v0
	v_add_co_u32_e32 v41, vcc, s8, v41
	v_addc_co_u32_e32 v42, vcc, v40, v42, vcc
	global_load_dwordx4 v[56:59], v[41:42], off offset:320
	v_lshlrev_b32_e32 v4, 1, v14
	v_lshlrev_b64 v[41:42], 3, v[4:5]
	ds_read2_b32 v[61:62], v1 offset0:35 offset1:45
	ds_read2_b32 v[45:46], v1 offset0:90 offset1:95
	;; [unrolled: 1-line block ×5, first 2 shown]
	ds_read_b32 v71, v44
	ds_read_b32 v81, v43
	v_add_co_u32_e32 v41, vcc, s8, v41
	v_addc_co_u32_e32 v42, vcc, v40, v42, vcc
	global_load_dwordx4 v[41:44], v[41:42], off offset:320
	s_mov_b32 s0, 0x51eb851f
	s_waitcnt vmcnt(3)
	v_mul_f32_e32 v4, v34, v49
	v_mul_f32_e32 v69, v36, v51
	s_waitcnt lgkmcnt(5)
	v_mul_f32_e32 v49, v46, v49
	s_waitcnt lgkmcnt(4)
	v_mul_f32_e32 v51, v64, v51
	v_fma_f32 v4, v46, v48, -v4
	v_fma_f32 v46, v64, v50, -v69
	v_fmac_f32_e32 v49, v34, v48
	v_fmac_f32_e32 v51, v36, v50
	s_waitcnt vmcnt(2)
	v_mul_f32_e32 v34, v33, v53
	v_mul_f32_e32 v36, v35, v55
	;; [unrolled: 1-line block ×4, first 2 shown]
	v_add_f32_e32 v53, v4, v46
	v_fma_f32 v34, v45, v52, -v34
	v_add_f32_e32 v45, v49, v51
	v_sub_f32_e32 v55, v49, v51
	v_add_f32_e32 v64, v62, v4
	v_add_f32_e32 v49, v32, v49
	v_fma_f32 v36, v63, v54, -v36
	v_fmac_f32_e32 v48, v33, v52
	v_fmac_f32_e32 v50, v35, v54
	s_waitcnt vmcnt(1)
	v_mul_f32_e32 v33, v30, v57
	v_mul_f32_e32 v35, v28, v59
	v_fma_f32 v54, -0.5, v53, v62
	v_fma_f32 v53, -0.5, v45, v32
	v_sub_f32_e32 v4, v4, v46
	v_add_f32_e32 v63, v64, v46
	v_add_f32_e32 v62, v49, v51
	;; [unrolled: 1-line block ×3, first 2 shown]
	s_waitcnt lgkmcnt(3)
	v_fma_f32 v51, v66, v56, -v33
	s_waitcnt lgkmcnt(2)
	v_fma_f32 v64, v68, v58, -v35
	v_mov_b32_e32 v69, v53
	v_fmac_f32_e32 v53, 0xbf5db3d7, v4
	s_waitcnt lgkmcnt(1)
	v_fma_f32 v72, -0.5, v32, v71
	v_add_f32_e32 v32, v51, v64
	v_fmac_f32_e32 v69, 0x3f5db3d7, v4
	v_lshlrev_b32_e32 v4, 1, v37
	v_fma_f32 v78, -0.5, v32, v61
	v_lshlrev_b64 v[32:33], 3, v[4:5]
	v_sub_f32_e32 v45, v48, v50
	v_add_f32_e32 v46, v71, v34
	v_add_f32_e32 v49, v48, v50
	v_mov_b32_e32 v76, v72
	v_lshlrev_b32_e32 v4, 1, v39
	v_add_f32_e32 v74, v46, v36
	v_fma_f32 v71, -0.5, v49, v47
	v_fmac_f32_e32 v72, 0x3f5db3d7, v45
	v_fmac_f32_e32 v76, 0xbf5db3d7, v45
	v_add_co_u32_e32 v32, vcc, s8, v32
	v_lshlrev_b64 v[45:46], 3, v[4:5]
	v_sub_f32_e32 v34, v34, v36
	v_mov_b32_e32 v75, v71
	v_addc_co_u32_e32 v33, vcc, v40, v33, vcc
	v_fmac_f32_e32 v71, 0xbf5db3d7, v34
	v_fmac_f32_e32 v75, 0x3f5db3d7, v34
	global_load_dwordx4 v[32:35], v[32:33], off offset:320
	v_add_co_u32_e32 v45, vcc, s8, v45
	v_add_f32_e32 v48, v47, v48
	v_addc_co_u32_e32 v46, vcc, v40, v46, vcc
	v_add_f32_e32 v73, v48, v50
	global_load_dwordx4 v[45:48], v[45:46], off offset:320
	v_mul_f32_e32 v36, v66, v57
	v_fmac_f32_e32 v36, v30, v56
	v_mul_f32_e32 v30, v68, v59
	v_fmac_f32_e32 v30, v28, v58
	v_add_f32_e32 v4, v36, v30
	v_mov_b32_e32 v70, v54
	v_fma_f32 v77, -0.5, v4, v31
	v_fmac_f32_e32 v54, 0x3f5db3d7, v55
	v_fmac_f32_e32 v70, 0xbf5db3d7, v55
	v_sub_f32_e32 v4, v51, v64
	v_mov_b32_e32 v55, v77
	v_fmac_f32_e32 v55, 0x3f5db3d7, v4
	v_fmac_f32_e32 v77, 0xbf5db3d7, v4
	v_add_u32_e32 v4, 30, v60
	v_lshlrev_b64 v[49:50], 3, v[4:5]
	v_sub_f32_e32 v28, v36, v30
	v_add_co_u32_e32 v49, vcc, s8, v49
	v_mov_b32_e32 v56, v78
	v_addc_co_u32_e32 v50, vcc, v40, v50, vcc
	v_fmac_f32_e32 v56, 0xbf5db3d7, v28
	v_fmac_f32_e32 v78, 0x3f5db3d7, v28
	v_add_f32_e32 v28, v61, v51
	global_load_dwordx4 v[49:52], v[49:50], off offset:320
	v_add_f32_e32 v4, v31, v36
	v_add_f32_e32 v57, v4, v30
	ds_read2_b32 v[30:31], v1 offset0:25 offset1:30
	v_add_f32_e32 v58, v28, v64
	s_waitcnt vmcnt(3)
	v_mul_f32_e32 v4, v29, v42
	v_mul_f32_e32 v28, v27, v44
	v_fma_f32 v4, v65, v41, -v4
	v_fma_f32 v28, v67, v43, -v28
	v_mul_f32_e32 v36, v65, v42
	v_add_f32_e32 v39, v4, v28
	v_fmac_f32_e32 v36, v29, v41
	v_mul_f32_e32 v29, v67, v44
	s_waitcnt lgkmcnt(0)
	v_fma_f32 v42, -0.5, v39, v31
	v_fmac_f32_e32 v29, v27, v43
	v_sub_f32_e32 v27, v36, v29
	v_mov_b32_e32 v44, v42
	v_fmac_f32_e32 v44, 0xbf5db3d7, v27
	v_fmac_f32_e32 v42, 0x3f5db3d7, v27
	v_add_f32_e32 v27, v31, v4
	v_add_f32_e32 v65, v27, v28
	;; [unrolled: 1-line block ×3, first 2 shown]
	v_fma_f32 v41, -0.5, v27, v22
	v_sub_f32_e32 v4, v4, v28
	ds_read2_b32 v[27:28], v1 offset0:70 offset1:75
	ds_read2_b32 v[66:67], v1 offset0:120 offset1:125
	v_mov_b32_e32 v43, v41
	v_fmac_f32_e32 v43, 0x3f5db3d7, v4
	v_fmac_f32_e32 v41, 0xbf5db3d7, v4
	v_add_f32_e32 v4, v22, v36
	v_add_f32_e32 v64, v4, v29
	s_waitcnt vmcnt(2)
	v_mul_f32_e32 v4, v26, v33
	s_waitcnt lgkmcnt(1)
	v_fma_f32 v59, v28, v32, -v4
	v_mul_f32_e32 v4, v24, v35
	s_waitcnt lgkmcnt(0)
	v_fma_f32 v61, v67, v34, -v4
	v_mul_f32_e32 v28, v28, v33
	v_mul_f32_e32 v33, v67, v35
	v_fmac_f32_e32 v28, v26, v32
	s_waitcnt vmcnt(1)
	v_mul_f32_e32 v4, v25, v46
	v_fma_f32 v67, v27, v45, -v4
	v_mul_f32_e32 v4, v23, v48
	v_mul_f32_e32 v46, v27, v46
	v_fma_f32 v68, v66, v47, -v4
	v_fmac_f32_e32 v46, v25, v45
	v_mul_f32_e32 v45, v66, v48
	v_add_u32_e32 v4, 20, v60
	v_fmac_f32_e32 v45, v23, v47
	v_lshlrev_b64 v[22:23], 3, v[4:5]
	v_fmac_f32_e32 v33, v24, v34
	v_add_co_u32_e32 v22, vcc, s8, v22
	v_addc_co_u32_e32 v23, vcc, v40, v23, vcc
	ds_read2_b32 v[31:32], v1 offset0:60 offset1:65
	ds_read2_b32 v[34:35], v1 offset0:110 offset1:115
	global_load_dwordx4 v[22:25], v[22:23], off offset:320
	s_waitcnt vmcnt(1)
	v_mul_f32_e32 v4, v20, v50
	s_waitcnt lgkmcnt(1)
	v_fma_f32 v66, v32, v49, -v4
	v_mul_f32_e32 v4, v18, v52
	s_waitcnt lgkmcnt(0)
	v_fma_f32 v79, v35, v51, -v4
	v_add_f32_e32 v4, v59, v61
	v_fma_f32 v36, -0.5, v4, v30
	v_sub_f32_e32 v4, v28, v33
	v_mov_b32_e32 v39, v36
	v_mul_f32_e32 v47, v32, v50
	v_fmac_f32_e32 v39, 0xbf5db3d7, v4
	v_fmac_f32_e32 v36, 0x3f5db3d7, v4
	v_add_f32_e32 v4, v28, v33
	v_fmac_f32_e32 v47, v20, v49
	v_mul_f32_e32 v49, v35, v52
	v_fma_f32 v35, -0.5, v4, v21
	v_lshlrev_b32_e32 v4, 1, v38
	v_fmac_f32_e32 v49, v18, v51
	v_add_f32_e32 v18, v30, v59
	v_add_f32_e32 v30, v21, v28
	v_lshlrev_b64 v[20:21], 3, v[4:5]
	v_sub_f32_e32 v4, v59, v61
	v_add_co_u32_e32 v20, vcc, s8, v20
	v_addc_co_u32_e32 v21, vcc, v40, v21, vcc
	global_load_dwordx4 v[26:29], v[20:21], off offset:320
	v_mov_b32_e32 v38, v35
	v_add_f32_e32 v21, v18, v61
	v_fmac_f32_e32 v38, 0x3f5db3d7, v4
	v_fmac_f32_e32 v35, 0xbf5db3d7, v4
	v_mov_b32_e32 v61, v5
	v_add_f32_e32 v20, v30, v33
	s_waitcnt vmcnt(1)
	v_mul_f32_e32 v4, v19, v23
	v_fma_f32 v4, v31, v22, -v4
	v_mul_f32_e32 v51, v31, v23
	v_lshlrev_b64 v[30:31], 3, v[60:61]
	v_mul_f32_e32 v18, v17, v25
	v_add_co_u32_e32 v30, vcc, s8, v30
	v_addc_co_u32_e32 v31, vcc, v40, v31, vcc
	global_load_dwordx4 v[30:33], v[30:31], off offset:320
	v_fma_f32 v59, v34, v24, -v18
	v_fmac_f32_e32 v51, v19, v22
	ds_read2_b32 v[18:19], v1 offset0:50 offset1:55
	v_mul_f32_e32 v34, v34, v25
	v_fmac_f32_e32 v34, v17, v24
	ds_read2_b32 v[22:23], v1 offset0:100 offset1:105
	ds_read2_b32 v[24:25], v1 offset0:15 offset1:20
	v_add_co_u32_e32 v2, vcc, s2, v2
	s_waitcnt vmcnt(1)
	v_mul_f32_e32 v17, v9, v27
	s_waitcnt lgkmcnt(2)
	v_fma_f32 v40, v19, v26, -v17
	v_mul_f32_e32 v17, v7, v29
	s_waitcnt lgkmcnt(1)
	v_fma_f32 v61, v23, v28, -v17
	v_mul_f32_e32 v23, v23, v29
	v_fmac_f32_e32 v23, v7, v28
	v_add_f32_e32 v7, v67, v68
	v_mul_f32_e32 v19, v19, v27
	s_waitcnt lgkmcnt(0)
	v_fma_f32 v27, -0.5, v7, v25
	v_sub_f32_e32 v7, v46, v45
	v_mov_b32_e32 v29, v27
	v_fmac_f32_e32 v29, 0xbf5db3d7, v7
	v_fmac_f32_e32 v27, 0x3f5db3d7, v7
	v_add_f32_e32 v7, v46, v45
	v_fmac_f32_e32 v19, v9, v26
	v_fma_f32 v26, -0.5, v7, v16
	v_mov_b32_e32 v28, v26
	v_sub_f32_e32 v7, v67, v68
	v_fmac_f32_e32 v28, 0x3f5db3d7, v7
	v_fmac_f32_e32 v26, 0xbf5db3d7, v7
	v_add_f32_e32 v7, v25, v67
	v_add_f32_e32 v17, v7, v68
	v_add_f32_e32 v7, v16, v46
	v_add_f32_e32 v16, v7, v45
	v_add_f32_e32 v7, v66, v79
	v_fma_f32 v46, -0.5, v7, v24
	v_add_f32_e32 v7, v47, v49
	v_fma_f32 v45, -0.5, v7, v15
	v_add_f32_e32 v7, v15, v47
	v_sub_f32_e32 v9, v47, v49
	ds_read2_b32 v[47:48], v1 offset0:5 offset1:10
	v_mov_b32_e32 v25, v46
	v_fmac_f32_e32 v25, 0xbf5db3d7, v9
	v_fmac_f32_e32 v46, 0x3f5db3d7, v9
	v_add_f32_e32 v9, v24, v66
	v_sub_f32_e32 v1, v66, v79
	v_mov_b32_e32 v24, v45
	v_fmac_f32_e32 v24, 0x3f5db3d7, v1
	v_fmac_f32_e32 v45, 0xbf5db3d7, v1
	v_add_f32_e32 v1, v4, v59
	s_waitcnt lgkmcnt(0)
	v_fma_f32 v52, -0.5, v1, v48
	v_sub_f32_e32 v1, v51, v34
	v_mov_b32_e32 v60, v52
	v_fmac_f32_e32 v60, 0xbf5db3d7, v1
	v_fmac_f32_e32 v52, 0x3f5db3d7, v1
	v_add_f32_e32 v1, v48, v4
	v_add_f32_e32 v67, v1, v59
	;; [unrolled: 1-line block ×5, first 2 shown]
	v_fma_f32 v51, -0.5, v1, v11
	v_sub_f32_e32 v1, v4, v59
	v_mov_b32_e32 v59, v51
	v_fmac_f32_e32 v59, 0x3f5db3d7, v1
	v_fmac_f32_e32 v51, 0xbf5db3d7, v1
	v_add_f32_e32 v1, v40, v61
	v_fma_f32 v80, -0.5, v1, v47
	v_add_f32_e32 v1, v19, v23
	v_add_f32_e32 v50, v9, v79
	v_fma_f32 v79, -0.5, v1, v10
	v_add_f32_e32 v1, v10, v19
	v_sub_f32_e32 v4, v19, v23
	v_mov_b32_e32 v10, v80
	v_fmac_f32_e32 v10, 0xbf5db3d7, v4
	v_fmac_f32_e32 v80, 0x3f5db3d7, v4
	v_add_f32_e32 v4, v47, v40
	v_add_f32_e32 v48, v4, v61
	;; [unrolled: 1-line block ×3, first 2 shown]
	s_waitcnt vmcnt(0)
	v_mul_f32_e32 v1, v8, v31
	v_mul_f32_e32 v4, v6, v33
	v_add_f32_e32 v49, v7, v49
	v_sub_f32_e32 v7, v40, v61
	v_mov_b32_e32 v9, v79
	v_fma_f32 v1, v18, v30, -v1
	v_fma_f32 v4, v22, v32, -v4
	v_mul_f32_e32 v11, v18, v31
	v_fmac_f32_e32 v9, 0x3f5db3d7, v7
	v_fmac_f32_e32 v79, 0xbf5db3d7, v7
	v_add_f32_e32 v7, v1, v4
	v_fmac_f32_e32 v11, v8, v30
	v_mul_f32_e32 v8, v22, v33
	v_fma_f32 v7, -0.5, v7, v81
	v_fmac_f32_e32 v8, v6, v32
	v_sub_f32_e32 v6, v11, v8
	v_mov_b32_e32 v19, v7
	v_fmac_f32_e32 v19, 0xbf5db3d7, v6
	v_fmac_f32_e32 v7, 0x3f5db3d7, v6
	v_add_f32_e32 v6, v81, v1
	v_add_f32_e32 v23, v6, v4
	;; [unrolled: 1-line block ×3, first 2 shown]
	v_fma_f32 v6, -0.5, v6, v13
	v_sub_f32_e32 v1, v1, v4
	v_mov_b32_e32 v18, v6
	v_fmac_f32_e32 v18, 0x3f5db3d7, v1
	v_fmac_f32_e32 v6, 0xbf5db3d7, v1
	v_add_f32_e32 v1, v13, v11
	v_add_f32_e32 v22, v1, v8
	v_mov_b32_e32 v1, v5
	v_mov_b32_e32 v4, s3
	v_lshlrev_b64 v[0:1], 3, v[0:1]
	v_addc_co_u32_e32 v3, vcc, v4, v3, vcc
	v_add_co_u32_e32 v0, vcc, v2, v0
	v_mul_hi_u32 v2, v37, s0
	v_addc_co_u32_e32 v1, vcc, v3, v1, vcc
	global_store_dwordx2 v[0:1], v[22:23], off
	global_store_dwordx2 v[0:1], v[6:7], off offset:400
	global_store_dwordx2 v[0:1], v[18:19], off offset:800
	;; [unrolled: 1-line block ×11, first 2 shown]
	v_lshrrev_b32_e32 v2, 4, v2
	v_mul_u32_u24_e32 v4, 0x64, v2
	v_lshlrev_b64 v[2:3], 3, v[4:5]
	v_mul_hi_u32 v4, v14, s0
	v_add_co_u32_e32 v2, vcc, v0, v2
	v_addc_co_u32_e32 v3, vcc, v1, v3, vcc
	global_store_dwordx2 v[0:1], v[16:17], off offset:160
	global_store_dwordx2 v[0:1], v[26:27], off offset:560
	;; [unrolled: 1-line block ×6, first 2 shown]
	v_lshrrev_b32_e32 v2, 4, v4
	v_mul_u32_u24_e32 v4, 0x64, v2
	v_lshlrev_b64 v[2:3], 3, v[4:5]
	v_add_co_u32_e32 v2, vcc, v0, v2
	v_addc_co_u32_e32 v3, vcc, v1, v3, vcc
	global_store_dwordx2 v[2:3], v[64:65], off offset:240
	global_store_dwordx2 v[2:3], v[41:42], off offset:640
	;; [unrolled: 1-line block ×6, first 2 shown]
	v_mul_hi_u32 v2, v12, s0
	global_store_dwordx2 v[0:1], v[73:74], off offset:320
	global_store_dwordx2 v[0:1], v[71:72], off offset:720
	;; [unrolled: 1-line block ×3, first 2 shown]
	v_lshrrev_b32_e32 v2, 4, v2
	v_mul_u32_u24_e32 v4, 0x64, v2
	v_lshlrev_b64 v[2:3], 3, v[4:5]
	v_add_co_u32_e32 v0, vcc, v0, v2
	v_addc_co_u32_e32 v1, vcc, v1, v3, vcc
	global_store_dwordx2 v[0:1], v[62:63], off offset:360
	global_store_dwordx2 v[0:1], v[53:54], off offset:760
	;; [unrolled: 1-line block ×3, first 2 shown]
.LBB0_14:
	s_endpgm
	.section	.rodata,"a",@progbits
	.p2align	6, 0x0
	.amdhsa_kernel fft_rtc_back_len150_factors_10_5_3_wgs_60_tpt_5_halfLds_sp_ip_CI_unitstride_sbrr_dirReg
		.amdhsa_group_segment_fixed_size 0
		.amdhsa_private_segment_fixed_size 0
		.amdhsa_kernarg_size 88
		.amdhsa_user_sgpr_count 6
		.amdhsa_user_sgpr_private_segment_buffer 1
		.amdhsa_user_sgpr_dispatch_ptr 0
		.amdhsa_user_sgpr_queue_ptr 0
		.amdhsa_user_sgpr_kernarg_segment_ptr 1
		.amdhsa_user_sgpr_dispatch_id 0
		.amdhsa_user_sgpr_flat_scratch_init 0
		.amdhsa_user_sgpr_private_segment_size 0
		.amdhsa_uses_dynamic_stack 0
		.amdhsa_system_sgpr_private_segment_wavefront_offset 0
		.amdhsa_system_sgpr_workgroup_id_x 1
		.amdhsa_system_sgpr_workgroup_id_y 0
		.amdhsa_system_sgpr_workgroup_id_z 0
		.amdhsa_system_sgpr_workgroup_info 0
		.amdhsa_system_vgpr_workitem_id 0
		.amdhsa_next_free_vgpr 92
		.amdhsa_next_free_sgpr 22
		.amdhsa_reserve_vcc 1
		.amdhsa_reserve_flat_scratch 0
		.amdhsa_float_round_mode_32 0
		.amdhsa_float_round_mode_16_64 0
		.amdhsa_float_denorm_mode_32 3
		.amdhsa_float_denorm_mode_16_64 3
		.amdhsa_dx10_clamp 1
		.amdhsa_ieee_mode 1
		.amdhsa_fp16_overflow 0
		.amdhsa_exception_fp_ieee_invalid_op 0
		.amdhsa_exception_fp_denorm_src 0
		.amdhsa_exception_fp_ieee_div_zero 0
		.amdhsa_exception_fp_ieee_overflow 0
		.amdhsa_exception_fp_ieee_underflow 0
		.amdhsa_exception_fp_ieee_inexact 0
		.amdhsa_exception_int_div_zero 0
	.end_amdhsa_kernel
	.text
.Lfunc_end0:
	.size	fft_rtc_back_len150_factors_10_5_3_wgs_60_tpt_5_halfLds_sp_ip_CI_unitstride_sbrr_dirReg, .Lfunc_end0-fft_rtc_back_len150_factors_10_5_3_wgs_60_tpt_5_halfLds_sp_ip_CI_unitstride_sbrr_dirReg
                                        ; -- End function
	.section	.AMDGPU.csdata,"",@progbits
; Kernel info:
; codeLenInByte = 10196
; NumSgprs: 26
; NumVgprs: 92
; ScratchSize: 0
; MemoryBound: 0
; FloatMode: 240
; IeeeMode: 1
; LDSByteSize: 0 bytes/workgroup (compile time only)
; SGPRBlocks: 3
; VGPRBlocks: 22
; NumSGPRsForWavesPerEU: 26
; NumVGPRsForWavesPerEU: 92
; Occupancy: 2
; WaveLimiterHint : 1
; COMPUTE_PGM_RSRC2:SCRATCH_EN: 0
; COMPUTE_PGM_RSRC2:USER_SGPR: 6
; COMPUTE_PGM_RSRC2:TRAP_HANDLER: 0
; COMPUTE_PGM_RSRC2:TGID_X_EN: 1
; COMPUTE_PGM_RSRC2:TGID_Y_EN: 0
; COMPUTE_PGM_RSRC2:TGID_Z_EN: 0
; COMPUTE_PGM_RSRC2:TIDIG_COMP_CNT: 0
	.type	__hip_cuid_18f1886745510c24,@object ; @__hip_cuid_18f1886745510c24
	.section	.bss,"aw",@nobits
	.globl	__hip_cuid_18f1886745510c24
__hip_cuid_18f1886745510c24:
	.byte	0                               ; 0x0
	.size	__hip_cuid_18f1886745510c24, 1

	.ident	"AMD clang version 19.0.0git (https://github.com/RadeonOpenCompute/llvm-project roc-6.4.0 25133 c7fe45cf4b819c5991fe208aaa96edf142730f1d)"
	.section	".note.GNU-stack","",@progbits
	.addrsig
	.addrsig_sym __hip_cuid_18f1886745510c24
	.amdgpu_metadata
---
amdhsa.kernels:
  - .args:
      - .actual_access:  read_only
        .address_space:  global
        .offset:         0
        .size:           8
        .value_kind:     global_buffer
      - .offset:         8
        .size:           8
        .value_kind:     by_value
      - .actual_access:  read_only
        .address_space:  global
        .offset:         16
        .size:           8
        .value_kind:     global_buffer
      - .actual_access:  read_only
        .address_space:  global
        .offset:         24
        .size:           8
        .value_kind:     global_buffer
      - .offset:         32
        .size:           8
        .value_kind:     by_value
      - .actual_access:  read_only
        .address_space:  global
        .offset:         40
        .size:           8
        .value_kind:     global_buffer
      - .actual_access:  read_only
        .address_space:  global
        .offset:         48
        .size:           8
        .value_kind:     global_buffer
      - .offset:         56
        .size:           4
        .value_kind:     by_value
      - .actual_access:  read_only
        .address_space:  global
        .offset:         64
        .size:           8
        .value_kind:     global_buffer
      - .actual_access:  read_only
        .address_space:  global
        .offset:         72
        .size:           8
        .value_kind:     global_buffer
      - .address_space:  global
        .offset:         80
        .size:           8
        .value_kind:     global_buffer
    .group_segment_fixed_size: 0
    .kernarg_segment_align: 8
    .kernarg_segment_size: 88
    .language:       OpenCL C
    .language_version:
      - 2
      - 0
    .max_flat_workgroup_size: 60
    .name:           fft_rtc_back_len150_factors_10_5_3_wgs_60_tpt_5_halfLds_sp_ip_CI_unitstride_sbrr_dirReg
    .private_segment_fixed_size: 0
    .sgpr_count:     26
    .sgpr_spill_count: 0
    .symbol:         fft_rtc_back_len150_factors_10_5_3_wgs_60_tpt_5_halfLds_sp_ip_CI_unitstride_sbrr_dirReg.kd
    .uniform_work_group_size: 1
    .uses_dynamic_stack: false
    .vgpr_count:     92
    .vgpr_spill_count: 0
    .wavefront_size: 64
amdhsa.target:   amdgcn-amd-amdhsa--gfx906
amdhsa.version:
  - 1
  - 2
...

	.end_amdgpu_metadata
